;; amdgpu-corpus repo=ROCm/rocFFT kind=compiled arch=gfx906 opt=O3
	.text
	.amdgcn_target "amdgcn-amd-amdhsa--gfx906"
	.amdhsa_code_object_version 6
	.protected	bluestein_single_back_len255_dim1_half_op_CI_CI ; -- Begin function bluestein_single_back_len255_dim1_half_op_CI_CI
	.globl	bluestein_single_back_len255_dim1_half_op_CI_CI
	.p2align	8
	.type	bluestein_single_back_len255_dim1_half_op_CI_CI,@function
bluestein_single_back_len255_dim1_half_op_CI_CI: ; @bluestein_single_back_len255_dim1_half_op_CI_CI
; %bb.0:
	v_mul_u32_u24_e32 v1, 0xf10, v0
	s_load_dwordx4 s[0:3], s[4:5], 0x28
	v_lshrrev_b32_e32 v1, 16, v1
	v_mad_u64_u32 v[8:9], s[6:7], s6, 3, v[1:2]
	v_mov_b32_e32 v9, 0
	s_waitcnt lgkmcnt(0)
	v_cmp_gt_u64_e32 vcc, s[0:1], v[8:9]
	s_and_saveexec_b64 s[0:1], vcc
	s_cbranch_execz .LBB0_15
; %bb.1:
	s_mov_b32 s0, 0xaaaaaaab
	v_mul_hi_u32 v2, v8, s0
	v_mul_lo_u16_e32 v1, 17, v1
	s_load_dwordx2 s[6:7], s[4:5], 0x0
	s_load_dwordx2 s[12:13], s[4:5], 0x38
	v_sub_u16_e32 v35, v0, v1
	v_lshrrev_b32_e32 v0, 1, v2
	v_lshl_add_u32 v0, v0, 1, v0
	v_sub_u32_e32 v0, v8, v0
	v_mul_u32_u24_e32 v37, 0xff, v0
	v_cmp_gt_u16_e32 vcc, 15, v35
	v_lshlrev_b32_e32 v36, 2, v35
	v_lshlrev_b32_e32 v38, 2, v37
	s_and_saveexec_b64 s[14:15], vcc
	s_cbranch_execz .LBB0_3
; %bb.2:
	s_load_dwordx2 s[0:1], s[4:5], 0x18
	v_lshl_add_u32 v13, v35, 2, v38
	v_add_u32_e32 v14, v38, v36
	s_waitcnt lgkmcnt(0)
	s_load_dwordx4 s[8:11], s[0:1], 0x0
	s_waitcnt lgkmcnt(0)
	v_mad_u64_u32 v[0:1], s[0:1], s10, v8, 0
	v_mad_u64_u32 v[2:3], s[0:1], s8, v35, 0
	;; [unrolled: 1-line block ×4, first 2 shown]
	v_mov_b32_e32 v1, v4
	v_lshlrev_b64 v[0:1], 2, v[0:1]
	v_mov_b32_e32 v3, v5
	v_mov_b32_e32 v6, s3
	v_lshlrev_b64 v[2:3], 2, v[2:3]
	v_add_co_u32_e64 v5, s[0:1], s2, v0
	v_addc_co_u32_e64 v6, s[0:1], v6, v1, s[0:1]
	v_add_co_u32_e64 v0, s[0:1], v5, v2
	v_addc_co_u32_e64 v1, s[0:1], v6, v3, s[0:1]
	s_mul_i32 s0, s9, 60
	s_mul_hi_u32 s3, s8, 60
	s_add_i32 s3, s3, s0
	s_mul_i32 s2, s8, 60
	v_mov_b32_e32 v3, s3
	v_add_co_u32_e64 v2, s[0:1], s2, v0
	v_addc_co_u32_e64 v3, s[0:1], v1, v3, s[0:1]
	global_load_dword v4, v[0:1], off
	global_load_dword v7, v[2:3], off
	global_load_dword v9, v36, s[6:7]
	global_load_dword v10, v36, s[6:7] offset:60
	v_mov_b32_e32 v1, s3
	v_add_co_u32_e64 v0, s[0:1], s2, v2
	v_addc_co_u32_e64 v1, s[0:1], v3, v1, s[0:1]
	global_load_dword v2, v[0:1], off
	global_load_dword v3, v36, s[6:7] offset:120
	v_mov_b32_e32 v11, s3
	v_add_co_u32_e64 v0, s[0:1], s2, v0
	v_addc_co_u32_e64 v1, s[0:1], v1, v11, s[0:1]
	global_load_dword v11, v[0:1], off
	global_load_dword v12, v36, s[6:7] offset:180
	v_mov_b32_e32 v19, s3
	v_add_co_u32_e64 v0, s[0:1], s2, v0
	v_addc_co_u32_e64 v1, s[0:1], v1, v19, s[0:1]
	global_load_dword v15, v36, s[6:7] offset:240
	global_load_dword v16, v36, s[6:7] offset:300
	;; [unrolled: 1-line block ×4, first 2 shown]
	global_load_dword v19, v[0:1], off
	v_mov_b32_e32 v20, s3
	v_add_co_u32_e64 v0, s[0:1], s2, v0
	v_addc_co_u32_e64 v1, s[0:1], v1, v20, s[0:1]
	global_load_dword v20, v[0:1], off
	v_mov_b32_e32 v21, s3
	v_add_co_u32_e64 v0, s[0:1], s2, v0
	v_addc_co_u32_e64 v1, s[0:1], v1, v21, s[0:1]
	;; [unrolled: 4-line block ×3, first 2 shown]
	v_mov_b32_e32 v23, s3
	global_load_dword v22, v[0:1], off
	v_add_co_u32_e64 v0, s[0:1], s2, v0
	v_addc_co_u32_e64 v1, s[0:1], v1, v23, s[0:1]
	v_mov_b32_e32 v29, s3
	s_waitcnt vmcnt(15)
	v_lshrrev_b32_e32 v24, 16, v4
	s_waitcnt vmcnt(13)
	v_mul_f16_sdwa v25, v9, v4 dst_sel:DWORD dst_unused:UNUSED_PAD src0_sel:WORD_1 src1_sel:DWORD
	v_mul_f16_sdwa v26, v9, v24 dst_sel:DWORD dst_unused:UNUSED_PAD src0_sel:WORD_1 src1_sel:DWORD
	v_fma_f16 v24, v9, v24, -v25
	v_lshrrev_b32_e32 v25, 16, v7
	s_waitcnt vmcnt(12)
	v_mul_f16_sdwa v27, v10, v7 dst_sel:DWORD dst_unused:UNUSED_PAD src0_sel:WORD_1 src1_sel:DWORD
	v_fma_f16 v4, v9, v4, v26
	v_mul_f16_sdwa v9, v10, v25 dst_sel:DWORD dst_unused:UNUSED_PAD src0_sel:WORD_1 src1_sel:DWORD
	s_waitcnt vmcnt(11)
	v_lshrrev_b32_e32 v26, 16, v2
	v_fma_f16 v25, v10, v25, -v27
	s_waitcnt vmcnt(10)
	v_mul_f16_sdwa v27, v3, v2 dst_sel:DWORD dst_unused:UNUSED_PAD src0_sel:WORD_1 src1_sel:DWORD
	v_fma_f16 v7, v10, v7, v9
	v_mul_f16_sdwa v9, v3, v26 dst_sel:DWORD dst_unused:UNUSED_PAD src0_sel:WORD_1 src1_sel:DWORD
	v_pack_b32_f16 v4, v4, v24
	v_fma_f16 v10, v3, v26, -v27
	v_fma_f16 v2, v3, v2, v9
	ds_write_b32 v13, v4
	v_pack_b32_f16 v4, v7, v25
	v_pack_b32_f16 v2, v2, v10
	s_waitcnt vmcnt(9)
	v_lshrrev_b32_e32 v24, 16, v11
	ds_write2_b32 v14, v4, v2 offset0:15 offset1:30
	global_load_dword v9, v[0:1], off
	v_mov_b32_e32 v2, s3
	v_add_co_u32_e64 v0, s[0:1], s2, v0
	s_waitcnt vmcnt(9)
	v_mul_f16_sdwa v3, v12, v24 dst_sel:DWORD dst_unused:UNUSED_PAD src0_sel:WORD_1 src1_sel:DWORD
	v_addc_co_u32_e64 v1, s[0:1], v1, v2, s[0:1]
	v_mul_f16_sdwa v26, v12, v11 dst_sel:DWORD dst_unused:UNUSED_PAD src0_sel:WORD_1 src1_sel:DWORD
	v_fma_f16 v3, v12, v11, v3
	global_load_dword v10, v[0:1], off
	global_load_dword v11, v36, s[6:7] offset:480
	v_add_co_u32_e64 v0, s[0:1], s2, v0
	v_addc_co_u32_e64 v1, s[0:1], v1, v2, s[0:1]
	v_fma_f16 v7, v12, v24, -v26
	global_load_dword v12, v[0:1], off
	v_add_co_u32_e64 v0, s[0:1], s2, v0
	v_addc_co_u32_e64 v1, s[0:1], v1, v2, s[0:1]
	global_load_dword v13, v36, s[6:7] offset:540
	global_load_dword v23, v[0:1], off
	global_load_dword v24, v36, s[6:7] offset:600
	v_add_co_u32_e64 v0, s[0:1], s2, v0
	v_addc_co_u32_e64 v1, s[0:1], v1, v2, s[0:1]
	global_load_dword v25, v[0:1], off
	global_load_dword v26, v36, s[6:7] offset:660
	global_load_dword v27, v36, s[6:7] offset:720
	v_add_co_u32_e64 v0, s[0:1], s2, v0
	v_addc_co_u32_e64 v1, s[0:1], v1, v2, s[0:1]
	global_load_dword v28, v[0:1], off
	v_add_co_u32_e64 v0, s[0:1], s2, v0
	v_or_b32_e32 v4, 0xf0, v35
	v_pack_b32_f16 v7, v3, v7
	v_addc_co_u32_e64 v1, s[0:1], v1, v2, s[0:1]
	v_mad_u64_u32 v[2:3], s[0:1], s8, v4, 0
	global_load_dword v30, v36, s[6:7] offset:780
	global_load_dword v31, v[0:1], off
	v_mad_u64_u32 v[3:4], s[0:1], s9, v4, v[3:4]
	global_load_dword v4, v36, s[6:7] offset:840
	v_add_co_u32_e64 v0, s[0:1], s2, v0
	v_addc_co_u32_e64 v1, s[0:1], v1, v29, s[0:1]
	global_load_dword v29, v[0:1], off
	global_load_dword v32, v36, s[6:7] offset:900
	v_lshlrev_b64 v[0:1], 2, v[2:3]
	v_add_co_u32_e64 v0, s[0:1], v5, v0
	v_addc_co_u32_e64 v1, s[0:1], v6, v1, s[0:1]
	global_load_dword v2, v[0:1], off
	global_load_dword v3, v36, s[6:7] offset:960
	s_waitcnt vmcnt(21)
	v_lshrrev_b32_e32 v0, 16, v19
	v_mul_f16_sdwa v1, v15, v0 dst_sel:DWORD dst_unused:UNUSED_PAD src0_sel:WORD_1 src1_sel:DWORD
	v_mul_f16_sdwa v5, v15, v19 dst_sel:DWORD dst_unused:UNUSED_PAD src0_sel:WORD_1 src1_sel:DWORD
	v_fma_f16 v1, v15, v19, v1
	v_fma_f16 v0, v15, v0, -v5
	v_pack_b32_f16 v0, v1, v0
	ds_write2_b32 v14, v7, v0 offset0:45 offset1:60
	s_waitcnt vmcnt(20)
	v_lshrrev_b32_e32 v0, 16, v20
	v_mul_f16_sdwa v1, v16, v0 dst_sel:DWORD dst_unused:UNUSED_PAD src0_sel:WORD_1 src1_sel:DWORD
	v_mul_f16_sdwa v5, v16, v20 dst_sel:DWORD dst_unused:UNUSED_PAD src0_sel:WORD_1 src1_sel:DWORD
	v_fma_f16 v1, v16, v20, v1
	v_fma_f16 v0, v16, v0, -v5
	v_pack_b32_f16 v0, v1, v0
	s_waitcnt vmcnt(19)
	v_lshrrev_b32_e32 v1, 16, v21
	v_mul_f16_sdwa v5, v17, v1 dst_sel:DWORD dst_unused:UNUSED_PAD src0_sel:WORD_1 src1_sel:DWORD
	v_mul_f16_sdwa v6, v17, v21 dst_sel:DWORD dst_unused:UNUSED_PAD src0_sel:WORD_1 src1_sel:DWORD
	v_fma_f16 v5, v17, v21, v5
	v_fma_f16 v1, v17, v1, -v6
	v_pack_b32_f16 v1, v5, v1
	ds_write2_b32 v14, v0, v1 offset0:75 offset1:90
	s_waitcnt vmcnt(18)
	v_lshrrev_b32_e32 v0, 16, v22
	v_mul_f16_sdwa v1, v18, v0 dst_sel:DWORD dst_unused:UNUSED_PAD src0_sel:WORD_1 src1_sel:DWORD
	v_mul_f16_sdwa v5, v18, v22 dst_sel:DWORD dst_unused:UNUSED_PAD src0_sel:WORD_1 src1_sel:DWORD
	v_fma_f16 v1, v18, v22, v1
	v_fma_f16 v0, v18, v0, -v5
	v_pack_b32_f16 v0, v1, v0
	s_waitcnt vmcnt(17)
	v_lshrrev_b32_e32 v1, 16, v9
	s_waitcnt vmcnt(15)
	v_mul_f16_sdwa v5, v11, v1 dst_sel:DWORD dst_unused:UNUSED_PAD src0_sel:WORD_1 src1_sel:DWORD
	v_mul_f16_sdwa v6, v11, v9 dst_sel:DWORD dst_unused:UNUSED_PAD src0_sel:WORD_1 src1_sel:DWORD
	v_fma_f16 v5, v11, v9, v5
	v_fma_f16 v1, v11, v1, -v6
	v_pack_b32_f16 v1, v5, v1
	ds_write2_b32 v14, v0, v1 offset0:105 offset1:120
	v_lshrrev_b32_e32 v0, 16, v10
	s_waitcnt vmcnt(13)
	v_mul_f16_sdwa v1, v13, v0 dst_sel:DWORD dst_unused:UNUSED_PAD src0_sel:WORD_1 src1_sel:DWORD
	v_mul_f16_sdwa v5, v13, v10 dst_sel:DWORD dst_unused:UNUSED_PAD src0_sel:WORD_1 src1_sel:DWORD
	v_fma_f16 v1, v13, v10, v1
	v_fma_f16 v0, v13, v0, -v5
	v_pack_b32_f16 v0, v1, v0
	v_lshrrev_b32_e32 v1, 16, v12
	s_waitcnt vmcnt(11)
	v_mul_f16_sdwa v5, v24, v1 dst_sel:DWORD dst_unused:UNUSED_PAD src0_sel:WORD_1 src1_sel:DWORD
	v_mul_f16_sdwa v6, v24, v12 dst_sel:DWORD dst_unused:UNUSED_PAD src0_sel:WORD_1 src1_sel:DWORD
	v_fma_f16 v5, v24, v12, v5
	v_fma_f16 v1, v24, v1, -v6
	v_pack_b32_f16 v1, v5, v1
	ds_write2_b32 v14, v0, v1 offset0:135 offset1:150
	v_lshrrev_b32_e32 v0, 16, v23
	s_waitcnt vmcnt(9)
	v_mul_f16_sdwa v1, v26, v0 dst_sel:DWORD dst_unused:UNUSED_PAD src0_sel:WORD_1 src1_sel:DWORD
	v_mul_f16_sdwa v5, v26, v23 dst_sel:DWORD dst_unused:UNUSED_PAD src0_sel:WORD_1 src1_sel:DWORD
	v_fma_f16 v1, v26, v23, v1
	v_fma_f16 v0, v26, v0, -v5
	v_pack_b32_f16 v0, v1, v0
	v_lshrrev_b32_e32 v1, 16, v25
	s_waitcnt vmcnt(8)
	v_mul_f16_sdwa v5, v27, v1 dst_sel:DWORD dst_unused:UNUSED_PAD src0_sel:WORD_1 src1_sel:DWORD
	v_mul_f16_sdwa v6, v27, v25 dst_sel:DWORD dst_unused:UNUSED_PAD src0_sel:WORD_1 src1_sel:DWORD
	v_fma_f16 v5, v27, v25, v5
	v_fma_f16 v1, v27, v1, -v6
	v_pack_b32_f16 v1, v5, v1
	ds_write2_b32 v14, v0, v1 offset0:165 offset1:180
	s_waitcnt vmcnt(7)
	v_lshrrev_b32_e32 v0, 16, v28
	s_waitcnt vmcnt(6)
	v_mul_f16_sdwa v1, v30, v0 dst_sel:DWORD dst_unused:UNUSED_PAD src0_sel:WORD_1 src1_sel:DWORD
	v_mul_f16_sdwa v5, v30, v28 dst_sel:DWORD dst_unused:UNUSED_PAD src0_sel:WORD_1 src1_sel:DWORD
	v_fma_f16 v1, v30, v28, v1
	v_fma_f16 v0, v30, v0, -v5
	v_pack_b32_f16 v0, v1, v0
	s_waitcnt vmcnt(5)
	v_lshrrev_b32_e32 v1, 16, v31
	s_waitcnt vmcnt(4)
	v_mul_f16_sdwa v5, v4, v1 dst_sel:DWORD dst_unused:UNUSED_PAD src0_sel:WORD_1 src1_sel:DWORD
	v_mul_f16_sdwa v6, v4, v31 dst_sel:DWORD dst_unused:UNUSED_PAD src0_sel:WORD_1 src1_sel:DWORD
	v_fma_f16 v5, v4, v31, v5
	v_fma_f16 v1, v4, v1, -v6
	v_pack_b32_f16 v1, v5, v1
	ds_write2_b32 v14, v0, v1 offset0:195 offset1:210
	s_waitcnt vmcnt(3)
	v_lshrrev_b32_e32 v0, 16, v29
	s_waitcnt vmcnt(2)
	v_mul_f16_sdwa v1, v32, v0 dst_sel:DWORD dst_unused:UNUSED_PAD src0_sel:WORD_1 src1_sel:DWORD
	v_mul_f16_sdwa v4, v32, v29 dst_sel:DWORD dst_unused:UNUSED_PAD src0_sel:WORD_1 src1_sel:DWORD
	v_fma_f16 v1, v32, v29, v1
	v_fma_f16 v0, v32, v0, -v4
	v_pack_b32_f16 v0, v1, v0
	s_waitcnt vmcnt(1)
	v_lshrrev_b32_e32 v1, 16, v2
	s_waitcnt vmcnt(0)
	v_mul_f16_sdwa v4, v3, v1 dst_sel:DWORD dst_unused:UNUSED_PAD src0_sel:WORD_1 src1_sel:DWORD
	v_fma_f16 v4, v3, v2, v4
	v_mul_f16_sdwa v2, v3, v2 dst_sel:DWORD dst_unused:UNUSED_PAD src0_sel:WORD_1 src1_sel:DWORD
	v_fma_f16 v1, v3, v1, -v2
	v_pack_b32_f16 v1, v4, v1
	ds_write2_b32 v14, v0, v1 offset0:225 offset1:240
.LBB0_3:
	s_or_b64 exec, exec, s[14:15]
	s_load_dwordx2 s[0:1], s[4:5], 0x20
	s_load_dwordx2 s[2:3], s[4:5], 0x8
	v_mov_b32_e32 v4, 0
	s_waitcnt lgkmcnt(0)
	; wave barrier
	s_waitcnt lgkmcnt(0)
                                        ; implicit-def: $vgpr9
                                        ; implicit-def: $vgpr1
                                        ; implicit-def: $vgpr3
                                        ; implicit-def: $vgpr7
                                        ; implicit-def: $vgpr12
                                        ; implicit-def: $vgpr14
                                        ; implicit-def: $vgpr16
                                        ; implicit-def: $vgpr18
                                        ; implicit-def: $vgpr50
	s_and_saveexec_b64 s[4:5], vcc
	s_cbranch_execz .LBB0_5
; %bb.4:
	v_lshl_add_u32 v9, v37, 2, v36
	ds_read2_b32 v[4:5], v9 offset1:15
	ds_read2_b32 v[17:18], v9 offset0:30 offset1:45
	ds_read2_b32 v[15:16], v9 offset0:60 offset1:75
	;; [unrolled: 1-line block ×7, first 2 shown]
	ds_read_b32 v9, v9 offset:960
	s_waitcnt lgkmcnt(0)
	v_alignbit_b32 v50, v17, v17, 16
.LBB0_5:
	s_or_b64 exec, exec, s[4:5]
	v_pk_add_f16 v20, v9, v5
	v_pk_add_f16 v17, v5, v9 neg_lo:[0,1] neg_hi:[0,1]
	v_lshrrev_b32_e32 v30, 16, v20
	s_movk_i32 s9, 0x39e9
	v_mul_f16_e32 v55, 0xb964, v17
	s_mov_b32 s24, 0xb5c8
	v_fma_f16 v19, v30, s9, -v55
	s_movk_i32 s8, 0x3b76
	v_mul_f16_sdwa v51, v17, s24 dst_sel:DWORD dst_unused:UNUSED_PAD src0_sel:WORD_1 src1_sel:DWORD
	s_mov_b32 s27, 0xb964
	v_add_f16_sdwa v21, v19, v4 dst_sel:DWORD dst_unused:UNUSED_PAD src0_sel:DWORD src1_sel:WORD_1
	v_pk_add_f16 v19, v1, v50 op_sel:[1,0] op_sel_hi:[0,1]
	v_pk_add_f16 v22, v50, v1 op_sel:[1,0] op_sel_hi:[0,1] neg_lo:[0,1] neg_hi:[0,1]
	v_fma_f16 v10, v20, s8, v51
	v_lshrrev_b32_e32 v29, 16, v19
	v_mul_f16_sdwa v52, v22, s27 dst_sel:DWORD dst_unused:UNUSED_PAD src0_sel:WORD_1 src1_sel:DWORD
	v_add_f16_e32 v10, v10, v4
	v_fma_f16 v23, v29, s9, v52
	s_movk_i32 s10, 0x2de8
	v_mul_f16_e32 v56, 0xbbf7, v22
	v_add_f16_e32 v10, v23, v10
	v_fma_f16 v23, v19, s10, -v56
	v_add_f16_e32 v23, v23, v21
	v_pk_add_f16 v21, v18, v0 neg_lo:[0,1] neg_hi:[0,1]
	s_mov_b32 s26, 0xbb29
	v_pk_add_f16 v24, v0, v18
	s_movk_i32 s11, 0x3722
	v_mul_f16_sdwa v53, v21, s26 dst_sel:DWORD dst_unused:UNUSED_PAD src0_sel:WORD_1 src1_sel:DWORD
	v_fma_f16 v25, v24, s11, v53
	v_lshrrev_b32_e32 v43, 16, v24
	s_mov_b32 s14, 0xb8d2
	v_mul_f16_e32 v58, 0xba62, v21
	v_add_f16_e32 v10, v25, v10
	v_fma_f16 v25, v43, s14, -v58
	v_add_f16_e32 v25, v25, v23
	s_mov_b32 s25, 0xbbf7
	v_pk_add_f16 v23, v15, v3 neg_lo:[0,1] neg_hi:[0,1]
	v_pk_add_f16 v26, v3, v15
	v_mul_f16_sdwa v54, v23, s25 dst_sel:DWORD dst_unused:UNUSED_PAD src0_sel:WORD_1 src1_sel:DWORD
	v_fma_f16 v27, v26, s10, v54
	s_mov_b32 s18, 0xbbdd
	v_lshrrev_b32_e32 v45, 16, v26
	v_mul_f16_e32 v60, 0xb1e1, v23
	v_add_f16_e32 v10, v27, v10
	v_fma_f16 v27, v45, s18, -v60
	v_add_f16_e32 v27, v27, v25
	s_mov_b32 s15, 0xbbb2
	v_pk_add_f16 v25, v16, v2 neg_lo:[0,1] neg_hi:[0,1]
	s_mov_b32 s16, 0xb461
	v_pk_add_f16 v28, v2, v16
	v_mul_f16_sdwa v57, v25, s15 dst_sel:DWORD dst_unused:UNUSED_PAD src0_sel:WORD_1 src1_sel:DWORD
	v_fma_f16 v31, v28, s16, v57
	s_mov_b32 s19, 0xbacd
	v_lshrrev_b32_e32 v46, 16, v28
	v_mul_f16_e32 v63, 0x3836, v25
	v_add_f16_e32 v10, v31, v10
	v_fma_f16 v31, v46, s19, -v63
	v_add_f16_e32 v31, v31, v27
	s_mov_b32 s17, 0xba62
	v_pk_add_f16 v27, v13, v7 neg_lo:[0,1] neg_hi:[0,1]
	v_pk_add_f16 v32, v7, v13
	v_mul_f16_sdwa v59, v27, s17 dst_sel:DWORD dst_unused:UNUSED_PAD src0_sel:WORD_1 src1_sel:DWORD
	v_fma_f16 v33, v32, s14, v59
	v_lshrrev_b32_e32 v47, 16, v32
	v_mul_f16_e32 v64, 0x3bb2, v27
	v_add_f16_e32 v10, v33, v10
	v_fma_f16 v33, v47, s16, -v64
	v_add_f16_e32 v33, v33, v31
	s_mov_b32 s20, 0xb836
	v_pk_add_f16 v31, v14, v6 neg_lo:[0,1] neg_hi:[0,1]
	v_pk_add_f16 v34, v6, v14
	v_mul_f16_sdwa v61, v31, s20 dst_sel:DWORD dst_unused:UNUSED_PAD src0_sel:WORD_1 src1_sel:DWORD
	v_fma_f16 v39, v34, s19, v61
	;; [unrolled: 10-line block ×3, first 2 shown]
	v_lshrrev_b32_e32 v49, 16, v44
	v_mul_f16_e32 v66, 0x35c8, v33
	v_add_f16_e32 v40, v40, v10
	v_fma_f16 v10, v49, s8, -v66
	s_mov_b32 s4, 0x3b7639e9
	v_add_f16_e32 v41, v10, v39
	s_mov_b32 s5, 0xb964b5c8
	v_pk_mul_f16 v10, v20, s4
	v_pk_fma_f16 v67, v17, s5, v10 op_sel:[0,0,1] op_sel_hi:[1,1,0] neg_lo:[1,0,0] neg_hi:[1,0,0]
	v_pk_fma_f16 v68, v17, s5, v10 op_sel:[0,0,1] op_sel_hi:[1,1,0]
	s_mov_b32 s5, 0xbbf7b964
	s_mov_b32 s4, 0x2de839e9
	v_pk_mul_f16 v10, v22, s5
	v_pk_fma_f16 v69, v19, s4, v10 neg_lo:[0,0,1] neg_hi:[0,0,1]
	v_pk_fma_f16 v70, v19, s4, v10
	s_mov_b32 s4, 0x3722b8d2
	s_mov_b32 s5, 0xba62bb29
	v_pk_mul_f16 v10, v24, s4
	s_mov_b32 s4, 0x2de8bbdd
	v_pk_fma_f16 v71, v21, s5, v10 op_sel:[0,0,1] op_sel_hi:[1,1,0] neg_lo:[1,0,0] neg_hi:[1,0,0]
	v_pk_fma_f16 v72, v21, s5, v10 op_sel:[0,0,1] op_sel_hi:[1,1,0]
	s_mov_b32 s5, 0xb1e1bbf7
	v_pk_mul_f16 v10, v26, s4
	s_mov_b32 s4, 0xb461bacd
	v_pk_fma_f16 v73, v23, s5, v10 op_sel:[0,0,1] op_sel_hi:[1,1,0] neg_lo:[1,0,0] neg_hi:[1,0,0]
	v_pk_fma_f16 v74, v23, s5, v10 op_sel:[0,0,1] op_sel_hi:[1,1,0]
	;; [unrolled: 5-line block ×4, first 2 shown]
	s_mov_b32 s5, 0x3b29b836
	v_pk_mul_f16 v10, v34, s4
	v_pk_fma_f16 v79, v31, s5, v10 op_sel:[0,0,1] op_sel_hi:[1,1,0] neg_lo:[1,0,0] neg_hi:[1,0,0]
	v_pk_fma_f16 v80, v31, s5, v10 op_sel:[0,0,1] op_sel_hi:[1,1,0]
	v_add_f16_sdwa v10, v67, v4 dst_sel:DWORD dst_unused:UNUSED_PAD src0_sel:DWORD src1_sel:WORD_1
	v_add_f16_e32 v10, v69, v10
	v_add_f16_e32 v10, v71, v10
	;; [unrolled: 1-line block ×3, first 2 shown]
	s_mov_b32 s4, 0xbbdd3b76
	v_add_f16_e32 v10, v75, v10
	s_mov_b32 s5, 0x35c8b1e1
	v_add_f16_e32 v10, v77, v10
	v_pk_mul_f16 v39, v44, s4
	v_add_f16_e32 v10, v79, v10
	v_pk_fma_f16 v81, v33, s5, v39 op_sel:[0,0,1] op_sel_hi:[1,1,0] neg_lo:[1,0,0] neg_hi:[1,0,0]
	v_add_f16_e32 v42, v81, v10
	v_add_f16_sdwa v10, v68, v4 dst_sel:DWORD dst_unused:UNUSED_PAD src0_sel:WORD_1 src1_sel:DWORD
	v_add_f16_sdwa v10, v70, v10 dst_sel:DWORD dst_unused:UNUSED_PAD src0_sel:WORD_1 src1_sel:DWORD
	;; [unrolled: 1-line block ×6, first 2 shown]
	v_pk_fma_f16 v82, v33, s5, v39 op_sel:[0,0,1] op_sel_hi:[1,1,0]
	v_add_f16_sdwa v10, v80, v10 dst_sel:DWORD dst_unused:UNUSED_PAD src0_sel:WORD_1 src1_sel:DWORD
	s_movk_i32 s29, 0x3836
	s_movk_i32 s28, 0x3bb2
	s_movk_i32 s22, 0x3b29
	s_movk_i32 s23, 0x35c8
	v_add_f16_sdwa v10, v82, v10 dst_sel:DWORD dst_unused:UNUSED_PAD src0_sel:WORD_1 src1_sel:DWORD
	v_mul_lo_u16_e32 v39, 17, v35
	s_waitcnt lgkmcnt(0)
	; wave barrier
	s_waitcnt lgkmcnt(0)
	s_and_saveexec_b64 s[4:5], vcc
	s_cbranch_execz .LBB0_7
; %bb.6:
	v_alignbit_b32 v83, v50, v50, 16
	v_alignbit_b32 v50, v4, v4, 16
	v_pk_add_f16 v5, v5, v50 op_sel:[0,1] op_sel_hi:[1,0]
	v_pk_add_f16 v5, v83, v5
	v_pk_add_f16 v5, v18, v5
	;; [unrolled: 1-line block ×3, first 2 shown]
	v_mul_f16_e32 v15, 0xb836, v17
	v_pk_add_f16 v5, v16, v5
	v_fma_f16 v16, v30, s19, v15
	v_mul_f16_e32 v18, 0x3b29, v22
	v_add_f16_sdwa v16, v16, v4 dst_sel:DWORD dst_unused:UNUSED_PAD src0_sel:DWORD src1_sel:WORD_1
	v_fma_f16 v83, v19, s11, v18
	v_add_f16_e32 v16, v83, v16
	v_mul_f16_e32 v83, 0xbbf7, v21
	v_fma_f16 v84, v43, s10, v83
	v_add_f16_e32 v16, v84, v16
	v_mul_f16_e32 v84, 0x3a62, v23
	;; [unrolled: 3-line block ×6, first 2 shown]
	v_fma_f16 v89, v49, s16, v88
	v_add_f16_e32 v16, v89, v16
	v_mul_f16_sdwa v89, v17, s20 dst_sel:DWORD dst_unused:UNUSED_PAD src0_sel:WORD_1 src1_sel:DWORD
	v_fma_f16 v90, v20, s19, -v89
	v_mul_f16_sdwa v91, v22, s22 dst_sel:DWORD dst_unused:UNUSED_PAD src0_sel:WORD_1 src1_sel:DWORD
	v_add_f16_e32 v90, v90, v4
	v_fma_f16 v92, v29, s11, -v91
	v_add_f16_e32 v90, v92, v90
	v_mul_f16_sdwa v92, v21, s25 dst_sel:DWORD dst_unused:UNUSED_PAD src0_sel:WORD_1 src1_sel:DWORD
	v_fma_f16 v93, v24, s10, -v92
	s_movk_i32 s33, 0x3a62
	v_add_f16_e32 v90, v93, v90
	v_mul_f16_sdwa v93, v23, s33 dst_sel:DWORD dst_unused:UNUSED_PAD src0_sel:WORD_1 src1_sel:DWORD
	v_fma_f16 v94, v26, s14, -v93
	v_add_f16_e32 v90, v94, v90
	v_mul_f16_sdwa v94, v25, s24 dst_sel:DWORD dst_unused:UNUSED_PAD src0_sel:WORD_1 src1_sel:DWORD
	v_fma_f16 v95, v28, s8, -v94
	;; [unrolled: 3-line block ×3, first 2 shown]
	s_movk_i32 s30, 0x3964
	v_add_f16_e32 v90, v96, v90
	v_mul_f16_sdwa v96, v31, s30 dst_sel:DWORD dst_unused:UNUSED_PAD src0_sel:WORD_1 src1_sel:DWORD
	v_fma_f16 v97, v34, s9, -v96
	v_add_f16_e32 v90, v97, v90
	v_mul_f16_sdwa v97, v33, s15 dst_sel:DWORD dst_unused:UNUSED_PAD src0_sel:WORD_1 src1_sel:DWORD
	v_fma_f16 v98, v44, s16, -v97
	v_add_f16_e32 v90, v98, v90
	v_mul_f16_e32 v98, 0xba62, v17
	v_fma_f16 v99, v30, s14, v98
	v_mul_f16_e32 v100, 0x3bb2, v22
	v_add_f16_sdwa v99, v99, v4 dst_sel:DWORD dst_unused:UNUSED_PAD src0_sel:DWORD src1_sel:WORD_1
	v_fma_f16 v101, v19, s16, v100
	v_add_f16_e32 v99, v101, v99
	v_mul_f16_e32 v101, 0xb5c8, v21
	v_fma_f16 v102, v43, s8, v101
	v_add_f16_e32 v99, v102, v99
	v_mul_f16_e32 v102, 0xb836, v23
	;; [unrolled: 3-line block ×6, first 2 shown]
	v_fma_f16 v107, v49, s11, v106
	v_add_f16_e32 v99, v107, v99
	v_mul_f16_sdwa v107, v17, s17 dst_sel:DWORD dst_unused:UNUSED_PAD src0_sel:WORD_1 src1_sel:DWORD
	v_fma_f16 v108, v20, s14, -v107
	v_mul_f16_sdwa v109, v22, s28 dst_sel:DWORD dst_unused:UNUSED_PAD src0_sel:WORD_1 src1_sel:DWORD
	v_add_f16_e32 v108, v108, v4
	v_fma_f16 v110, v29, s16, -v109
	v_add_f16_e32 v108, v110, v108
	v_mul_f16_sdwa v110, v21, s24 dst_sel:DWORD dst_unused:UNUSED_PAD src0_sel:WORD_1 src1_sel:DWORD
	v_fma_f16 v111, v24, s8, -v110
	v_add_f16_e32 v108, v111, v108
	v_mul_f16_sdwa v111, v23, s20 dst_sel:DWORD dst_unused:UNUSED_PAD src0_sel:WORD_1 src1_sel:DWORD
	v_fma_f16 v112, v26, s19, -v111
	s_movk_i32 s31, 0x3bf7
	v_add_f16_e32 v108, v112, v108
	v_mul_f16_sdwa v112, v25, s31 dst_sel:DWORD dst_unused:UNUSED_PAD src0_sel:WORD_1 src1_sel:DWORD
	v_fma_f16 v113, v28, s10, -v112
	v_add_f16_e32 v108, v113, v108
	v_mul_f16_sdwa v113, v27, s27 dst_sel:DWORD dst_unused:UNUSED_PAD src0_sel:WORD_1 src1_sel:DWORD
	v_fma_f16 v114, v32, s9, -v113
	;; [unrolled: 3-line block ×4, first 2 shown]
	v_add_f16_e32 v108, v116, v108
	v_mul_f16_e32 v116, 0xbbb2, v17
	v_fma_f16 v117, v30, s16, v116
	v_mul_f16_e32 v118, 0x3836, v22
	v_add_f16_sdwa v117, v117, v4 dst_sel:DWORD dst_unused:UNUSED_PAD src0_sel:DWORD src1_sel:WORD_1
	v_fma_f16 v119, v19, s19, v118
	v_add_f16_e32 v117, v119, v117
	v_mul_f16_e32 v119, 0x3964, v21
	v_fma_f16 v120, v43, s9, v119
	v_add_f16_e32 v117, v120, v117
	v_mul_f16_e32 v120, 0xbb29, v23
	;; [unrolled: 3-line block ×6, first 2 shown]
	v_fma_f16 v125, v49, s14, v124
	v_add_f16_e32 v117, v125, v117
	v_mul_f16_sdwa v125, v17, s15 dst_sel:DWORD dst_unused:UNUSED_PAD src0_sel:WORD_1 src1_sel:DWORD
	v_fma_f16 v126, v20, s16, -v125
	v_mul_f16_sdwa v127, v22, s29 dst_sel:DWORD dst_unused:UNUSED_PAD src0_sel:WORD_1 src1_sel:DWORD
	v_add_f16_e32 v126, v126, v4
	v_fma_f16 v128, v29, s19, -v127
	v_add_f16_e32 v126, v128, v126
	v_mul_f16_sdwa v128, v21, s30 dst_sel:DWORD dst_unused:UNUSED_PAD src0_sel:WORD_1 src1_sel:DWORD
	v_fma_f16 v129, v24, s9, -v128
	v_add_f16_e32 v126, v129, v126
	v_mul_f16_sdwa v129, v23, s26 dst_sel:DWORD dst_unused:UNUSED_PAD src0_sel:WORD_1 src1_sel:DWORD
	;; [unrolled: 3-line block ×6, first 2 shown]
	v_fma_f16 v134, v44, s14, -v133
	v_add_f16_e32 v126, v134, v126
	v_mul_f16_e32 v134, 0xbbf7, v17
	v_fma_f16 v135, v30, s10, v134
	v_mul_f16_e32 v136, 0xb1e1, v22
	v_add_f16_sdwa v135, v135, v4 dst_sel:DWORD dst_unused:UNUSED_PAD src0_sel:DWORD src1_sel:WORD_1
	v_fma_f16 v137, v19, s18, v136
	v_add_f16_e32 v135, v137, v135
	v_mul_f16_e32 v137, 0x3bb2, v21
	v_fma_f16 v138, v43, s16, v137
	v_add_f16_e32 v135, v138, v135
	v_mul_f16_e32 v138, 0x35c8, v23
	v_fma_f16 v139, v45, s8, v138
	v_add_f16_e32 v135, v139, v135
	v_mul_f16_e32 v139, 0xbb29, v25
	v_fma_f16 v140, v46, s11, v139
	v_add_f16_e32 v135, v140, v135
	v_mul_f16_e32 v140, 0xb836, v27
	v_fma_f16 v141, v47, s19, v140
	v_add_f16_e32 v135, v141, v135
	v_mul_f16_e32 v141, 0x3a62, v31
	v_fma_f16 v142, v48, s14, v141
	v_add_f16_e32 v135, v142, v135
	v_mul_f16_e32 v142, 0x3964, v33
	v_fma_f16 v143, v49, s9, v142
	v_add_f16_e32 v135, v143, v135
	v_mul_f16_sdwa v143, v17, s25 dst_sel:DWORD dst_unused:UNUSED_PAD src0_sel:WORD_1 src1_sel:DWORD
	v_fma_f16 v144, v20, s10, -v143
	v_mul_f16_sdwa v145, v22, s21 dst_sel:DWORD dst_unused:UNUSED_PAD src0_sel:WORD_1 src1_sel:DWORD
	v_add_f16_e32 v144, v144, v4
	v_fma_f16 v146, v29, s18, -v145
	v_add_f16_e32 v144, v146, v144
	v_mul_f16_sdwa v146, v21, s28 dst_sel:DWORD dst_unused:UNUSED_PAD src0_sel:WORD_1 src1_sel:DWORD
	v_fma_f16 v147, v24, s16, -v146
	v_add_f16_e32 v144, v147, v144
	v_mul_f16_sdwa v147, v23, s23 dst_sel:DWORD dst_unused:UNUSED_PAD src0_sel:WORD_1 src1_sel:DWORD
	;; [unrolled: 3-line block ×6, first 2 shown]
	v_fma_f16 v152, v44, s9, -v151
	v_add_f16_e32 v144, v152, v144
	v_mul_f16_e32 v152, 0xbb29, v17
	v_fma_f16 v153, v30, s11, v152
	v_mul_f16_e32 v154, 0xba62, v22
	v_add_f16_sdwa v153, v153, v4 dst_sel:DWORD dst_unused:UNUSED_PAD src0_sel:DWORD src1_sel:WORD_1
	v_fma_f16 v155, v19, s14, v154
	v_add_f16_e32 v153, v155, v153
	v_mul_f16_e32 v155, 0x31e1, v21
	v_fma_f16 v156, v43, s18, v155
	v_add_f16_e32 v153, v156, v153
	v_mul_f16_e32 v156, 0x3bb2, v23
	;; [unrolled: 3-line block ×6, first 2 shown]
	v_fma_f16 v161, v49, s19, v160
	v_add_f16_e32 v153, v161, v153
	v_mul_f16_sdwa v161, v17, s26 dst_sel:DWORD dst_unused:UNUSED_PAD src0_sel:WORD_1 src1_sel:DWORD
	v_fma_f16 v162, v20, s11, -v161
	v_mul_f16_sdwa v163, v22, s17 dst_sel:DWORD dst_unused:UNUSED_PAD src0_sel:WORD_1 src1_sel:DWORD
	v_add_f16_e32 v162, v162, v4
	v_fma_f16 v164, v29, s14, -v163
	s_movk_i32 s26, 0x31e1
	v_add_f16_e32 v162, v164, v162
	v_mul_f16_sdwa v164, v21, s26 dst_sel:DWORD dst_unused:UNUSED_PAD src0_sel:WORD_1 src1_sel:DWORD
	v_fma_f16 v165, v24, s18, -v164
	v_add_f16_e32 v162, v165, v162
	v_mul_f16_sdwa v165, v23, s28 dst_sel:DWORD dst_unused:UNUSED_PAD src0_sel:WORD_1 src1_sel:DWORD
	v_fma_f16 v166, v26, s16, -v165
	;; [unrolled: 3-line block ×6, first 2 shown]
	v_add_f16_e32 v162, v170, v162
	v_mul_f16_e32 v170, 0x39e9, v30
	v_add_f16_e32 v55, v55, v170
	v_mul_f16_e32 v170, 0x2de8, v19
	v_add_f16_e32 v56, v56, v170
	v_add_f16_sdwa v55, v55, v4 dst_sel:DWORD dst_unused:UNUSED_PAD src0_sel:DWORD src1_sel:WORD_1
	v_add_f16_e32 v55, v56, v55
	v_mul_f16_e32 v56, 0xb8d2, v43
	v_add_f16_e32 v56, v58, v56
	v_add_f16_e32 v55, v56, v55
	v_mul_f16_e32 v56, 0xbbdd, v45
	v_add_f16_e32 v56, v60, v56
	;; [unrolled: 3-line block ×6, first 2 shown]
	s_mov_b32 s24, 0xffff
	v_add_f16_e32 v55, v56, v55
	v_bfi_b32 v56, s24, v68, v67
	v_mul_f16_e32 v68, 0x3b76, v20
	v_sub_f16_e32 v51, v68, v51
	v_mul_f16_e32 v68, 0x39e9, v29
	v_sub_f16_e32 v52, v68, v52
	v_add_f16_e32 v51, v51, v4
	v_add_f16_e32 v51, v52, v51
	v_mul_f16_e32 v52, 0x3722, v24
	v_sub_f16_e32 v52, v52, v53
	v_add_f16_e32 v51, v52, v51
	v_mul_f16_e32 v52, 0x2de8, v26
	v_sub_f16_e32 v52, v52, v54
	v_fma_f16 v15, v30, s19, -v15
	v_add_f16_e32 v51, v52, v51
	v_mul_f16_e32 v52, 0xb461, v28
	v_add_f16_sdwa v15, v15, v4 dst_sel:DWORD dst_unused:UNUSED_PAD src0_sel:DWORD src1_sel:WORD_1
	v_fma_f16 v18, v19, s11, -v18
	v_sub_f16_e32 v52, v52, v57
	v_add_f16_e32 v15, v18, v15
	v_fma_f16 v18, v43, s10, -v83
	v_add_f16_e32 v51, v52, v51
	v_mul_f16_e32 v52, 0xb8d2, v32
	v_add_f16_e32 v15, v18, v15
	v_fma_f16 v18, v45, s14, -v84
	v_sub_f16_e32 v52, v52, v59
	v_add_f16_e32 v15, v18, v15
	v_fma_f16 v18, v46, s8, -v85
	v_add_f16_e32 v51, v52, v51
	v_mul_f16_e32 v52, 0xbacd, v34
	v_add_f16_e32 v15, v18, v15
	;; [unrolled: 7-line block ×3, first 2 shown]
	v_fma_f16 v18, v49, s16, -v88
	v_sub_f16_e32 v52, v52, v62
	v_add_f16_e32 v15, v18, v15
	v_fma_f16 v18, v20, s19, v89
	v_add_f16_e32 v51, v52, v51
	v_add_f16_e32 v18, v18, v4
	v_fma_f16 v52, v29, s11, v91
	v_add_f16_e32 v18, v52, v18
	v_fma_f16 v52, v24, s10, v92
	v_add_f16_e32 v18, v52, v18
	v_fma_f16 v52, v26, s14, v93
	v_add_f16_e32 v18, v52, v18
	v_fma_f16 v52, v28, s8, v94
	v_add_f16_e32 v18, v52, v18
	v_fma_f16 v52, v32, s18, v95
	v_add_f16_e32 v18, v52, v18
	v_fma_f16 v52, v34, s9, v96
	v_add_f16_e32 v18, v52, v18
	v_fma_f16 v52, v44, s16, v97
	v_add_f16_e32 v18, v52, v18
	v_fma_f16 v52, v30, s14, -v98
	v_add_f16_sdwa v52, v52, v4 dst_sel:DWORD dst_unused:UNUSED_PAD src0_sel:DWORD src1_sel:WORD_1
	v_fma_f16 v53, v19, s16, -v100
	v_add_f16_e32 v52, v53, v52
	v_fma_f16 v53, v43, s8, -v101
	v_add_f16_e32 v52, v53, v52
	v_fma_f16 v53, v45, s19, -v102
	v_add_f16_e32 v52, v53, v52
	v_fma_f16 v53, v46, s10, -v103
	v_add_f16_e32 v52, v53, v52
	v_fma_f16 v53, v47, s9, -v104
	v_add_f16_e32 v52, v53, v52
	v_fma_f16 v53, v48, s18, -v105
	v_add_f16_e32 v52, v53, v52
	v_fma_f16 v53, v49, s11, -v106
	v_add_f16_e32 v52, v53, v52
	v_fma_f16 v53, v20, s14, v107
	v_add_f16_e32 v53, v53, v4
	v_fma_f16 v54, v29, s16, v109
	v_add_f16_e32 v53, v54, v53
	v_fma_f16 v54, v24, s8, v110
	v_add_f16_e32 v53, v54, v53
	v_fma_f16 v54, v26, s19, v111
	v_add_f16_e32 v53, v54, v53
	v_fma_f16 v54, v28, s10, v112
	v_add_f16_e32 v53, v54, v53
	v_fma_f16 v54, v32, s9, v113
	v_add_f16_e32 v53, v54, v53
	v_fma_f16 v54, v34, s18, v114
	v_add_f16_e32 v53, v54, v53
	v_fma_f16 v54, v44, s11, v115
	v_add_f16_e32 v53, v54, v53
	v_fma_f16 v54, v30, s16, -v116
	v_add_f16_sdwa v54, v54, v4 dst_sel:DWORD dst_unused:UNUSED_PAD src0_sel:DWORD src1_sel:WORD_1
	v_fma_f16 v57, v19, s19, -v118
	v_add_f16_e32 v54, v57, v54
	v_fma_f16 v57, v43, s9, -v119
	v_add_f16_e32 v54, v57, v54
	v_fma_f16 v57, v45, s11, -v120
	v_add_f16_e32 v54, v57, v54
	v_fma_f16 v57, v46, s18, -v121
	v_add_f16_e32 v54, v57, v54
	v_fma_f16 v57, v47, s10, -v122
	v_add_f16_e32 v54, v57, v54
	v_fma_f16 v57, v48, s8, -v123
	v_add_f16_e32 v54, v57, v54
	v_fma_f16 v57, v49, s14, -v124
	v_add_f16_e32 v54, v57, v54
	v_fma_f16 v57, v20, s16, v125
	;; [unrolled: 32-line block ×3, first 2 shown]
	v_add_f16_e32 v61, v61, v4
	v_fma_f16 v62, v29, s18, v145
	v_add_f16_e32 v61, v62, v61
	v_fma_f16 v62, v24, s16, v146
	v_add_f16_e32 v61, v62, v61
	v_fma_f16 v62, v26, s8, v147
	v_add_f16_e32 v61, v62, v61
	v_fma_f16 v62, v28, s11, v148
	v_add_f16_e32 v61, v62, v61
	v_fma_f16 v62, v32, s19, v149
	v_add_f16_e32 v61, v62, v61
	v_fma_f16 v62, v34, s14, v150
	v_pk_add_f16 v5, v13, v5
	v_add_f16_e32 v61, v62, v61
	v_fma_f16 v62, v44, s9, v151
	v_fma_f16 v30, v30, s11, -v152
	v_pk_add_f16 v5, v14, v5
	v_add_f16_e32 v61, v62, v61
	v_add_f16_sdwa v30, v30, v4 dst_sel:DWORD dst_unused:UNUSED_PAD src0_sel:DWORD src1_sel:WORD_1
	v_fma_f16 v62, v19, s14, -v154
	v_pk_add_f16 v5, v11, v5
	v_add_f16_e32 v30, v62, v30
	v_fma_f16 v43, v43, s18, -v155
	v_pk_add_f16 v5, v12, v5
	v_add_f16_e32 v30, v43, v30
	;; [unrolled: 3-line block ×6, first 2 shown]
	v_fma_f16 v43, v49, s19, -v160
	v_pk_add_f16 v0, v0, v2
	v_bfi_b32 v58, s24, v70, v69
	v_add_f16_e32 v30, v43, v30
	v_fma_f16 v43, v20, s11, v161
	v_pk_add_f16 v0, v1, v0
	v_pk_add_f16 v1, v56, v50
	v_bfi_b32 v60, s24, v72, v71
	v_add_f16_e32 v4, v43, v4
	v_fma_f16 v29, v29, s14, v163
	v_pk_add_f16 v1, v58, v1
	v_bfi_b32 v63, s24, v74, v73
	v_add_f16_e32 v4, v29, v4
	v_fma_f16 v29, v24, s18, v164
	;; [unrolled: 4-line block ×6, first 2 shown]
	v_pk_add_f16 v1, v66, v1
	v_add_f16_e32 v4, v29, v4
	v_fma_f16 v29, v44, s19, v169
	v_pk_add_f16 v1, v67, v1
	v_add_f16_e32 v4, v29, v4
	v_add_lshl_u32 v29, v37, v39, 2
	v_alignbit_b32 v2, v55, v1, 16
	v_pack_b32_f16 v1, v51, v1
	ds_write2_b32 v29, v1, v2 offset0:1 offset1:2
	v_pack_b32_f16 v1, v144, v135
	v_pack_b32_f16 v2, v162, v153
	ds_write2_b32 v29, v2, v1 offset0:3 offset1:4
	v_pack_b32_f16 v1, v108, v99
	v_pack_b32_f16 v2, v126, v117
	v_pk_add_f16 v0, v9, v0
	ds_write2_b32 v29, v2, v1 offset0:5 offset1:6
	v_pack_b32_f16 v1, v90, v16
	ds_write2_b32 v29, v0, v1 offset1:7
	v_pk_mul_f16 v0, v20, s18 op_sel_hi:[1,0]
	v_pk_fma_f16 v1, v17, s21, v0 op_sel:[0,0,1] op_sel_hi:[1,0,0] neg_lo:[1,0,0] neg_hi:[1,0,0]
	v_pk_mul_f16 v2, v22, s23 op_sel_hi:[1,0]
	v_pk_add_f16 v1, v1, v50
	v_pk_fma_f16 v3, v19, s8, v2 op_sel_hi:[1,0,1] neg_lo:[0,0,1] neg_hi:[0,0,1]
	v_pk_add_f16 v1, v3, v1
	v_pk_mul_f16 v3, v24, s19 op_sel_hi:[1,0]
	v_pk_fma_f16 v5, v21, s20, v3 op_sel:[0,0,1] op_sel_hi:[1,0,0] neg_lo:[1,0,0] neg_hi:[1,0,0]
	v_pk_add_f16 v1, v5, v1
	v_pk_mul_f16 v5, v26, s9 op_sel_hi:[1,0]
	v_pk_fma_f16 v6, v23, s30, v5 op_sel:[0,0,1] op_sel_hi:[1,0,0] neg_lo:[1,0,0] neg_hi:[1,0,0]
	v_pk_add_f16 v1, v6, v1
	v_pk_mul_f16 v6, v28, s14 op_sel_hi:[1,0]
	v_pk_fma_f16 v0, v17, s21, v0 op_sel:[0,0,1] op_sel_hi:[1,0,0]
	v_pk_fma_f16 v7, v25, s17, v6 op_sel:[0,0,1] op_sel_hi:[1,0,0] neg_lo:[1,0,0] neg_hi:[1,0,0]
	v_pk_add_f16 v0, v0, v50
	v_pk_fma_f16 v2, v19, s8, v2 op_sel_hi:[1,0,1]
	v_pk_add_f16 v1, v7, v1
	v_pk_mul_f16 v7, v32, s11 op_sel_hi:[1,0]
	v_pk_add_f16 v0, v2, v0
	v_pk_fma_f16 v2, v21, s20, v3 op_sel:[0,0,1] op_sel_hi:[1,0,0]
	v_pk_fma_f16 v9, v27, s22, v7 op_sel:[0,0,1] op_sel_hi:[1,0,0] neg_lo:[1,0,0] neg_hi:[1,0,0]
	v_pk_add_f16 v0, v2, v0
	v_pk_fma_f16 v2, v23, s30, v5 op_sel:[0,0,1] op_sel_hi:[1,0,0]
	v_pk_add_f16 v1, v9, v1
	v_pk_mul_f16 v9, v34, s16 op_sel_hi:[1,0]
	v_pk_add_f16 v0, v2, v0
	v_pk_fma_f16 v2, v25, s17, v6 op_sel:[0,0,1] op_sel_hi:[1,0,0]
	v_pk_fma_f16 v11, v31, s15, v9 op_sel:[0,0,1] op_sel_hi:[1,0,0] neg_lo:[1,0,0] neg_hi:[1,0,0]
	v_pk_add_f16 v0, v2, v0
	v_pk_fma_f16 v2, v27, s22, v7 op_sel:[0,0,1] op_sel_hi:[1,0,0]
	;; [unrolled: 7-line block ×3, first 2 shown]
	v_pk_add_f16 v1, v12, v1
	v_pk_add_f16 v0, v2, v0
	v_alignbit_b32 v2, v1, v0, 16
	v_alignbit_b32 v0, v0, v1, 16
	ds_write2_b32 v29, v0, v2 offset0:8 offset1:9
	v_pack_b32_f16 v0, v53, v52
	v_pack_b32_f16 v1, v18, v15
	ds_write2_b32 v29, v1, v0 offset0:10 offset1:11
	v_pack_b32_f16 v0, v61, v59
	v_pack_b32_f16 v1, v57, v54
	s_mov_b32 s8, 0x5040100
	ds_write2_b32 v29, v1, v0 offset0:12 offset1:13
	v_pack_b32_f16 v0, v4, v30
	v_perm_b32 v1, v41, v10, s8
	ds_write2_b32 v29, v0, v1 offset0:14 offset1:15
	v_perm_b32 v0, v42, v40, s8
	ds_write_b32 v29, v0 offset:64
.LBB0_7:
	s_or_b64 exec, exec, s[4:5]
	s_load_dwordx4 s[8:11], s[0:1], 0x0
	v_add_co_u32_e64 v25, s[0:1], 34, v35
	s_movk_i32 s0, 0xf1
	v_mul_lo_u16_sdwa v4, v25, s0 dst_sel:DWORD dst_unused:UNUSED_PAD src0_sel:BYTE_0 src1_sel:DWORD
	v_lshrrev_b16_e32 v4, 12, v4
	v_mul_lo_u16_e32 v4, 17, v4
	v_sub_u16_e32 v26, v25, v4
	v_lshlrev_b16_e32 v4, 2, v26
	v_lshlrev_b32_e32 v9, 4, v35
	v_and_b32_e32 v4, 0xfc, v4
	s_waitcnt lgkmcnt(0)
	; wave barrier
	s_waitcnt lgkmcnt(0)
	global_load_dwordx4 v[0:3], v9, s[2:3]
	v_lshlrev_b32_e32 v4, 2, v4
	global_load_dwordx4 v[4:7], v4, s[2:3]
	v_add_lshl_u32 v43, v37, v35, 2
	ds_read2_b32 v[11:12], v43 offset1:17
	ds_read2_b32 v[13:14], v43 offset0:34 offset1:51
	ds_read2_b32 v[15:16], v43 offset0:102 offset1:119
	ds_read2_b32 v[17:18], v43 offset0:136 offset1:153
	ds_read2_b32 v[19:20], v43 offset0:204 offset1:221
	ds_read2_b32 v[21:22], v43 offset0:68 offset1:85
	ds_read2_b32 v[23:24], v43 offset0:170 offset1:187
	ds_read_b32 v29, v43 offset:952
	s_waitcnt lgkmcnt(5)
	v_lshrrev_b32_e32 v32, 16, v15
	s_waitcnt lgkmcnt(4)
	v_lshrrev_b32_e32 v33, 16, v18
	v_lshrrev_b32_e32 v31, 16, v14
	v_mov_b32_e32 v28, s3
	v_add_co_u32_e64 v9, s[0:1], s2, v9
	s_waitcnt lgkmcnt(3)
	v_lshrrev_b32_e32 v34, 16, v19
	s_waitcnt lgkmcnt(2)
	v_lshrrev_b32_e32 v50, 16, v22
	v_lshrrev_b32_e32 v51, 16, v17
	v_addc_co_u32_e64 v28, s[0:1], 0, v28, s[0:1]
	s_waitcnt lgkmcnt(1)
	v_lshrrev_b32_e32 v52, 16, v24
	s_movk_i32 s0, 0x3b9c
	s_mov_b32 s5, 0xbb9c
	s_waitcnt lgkmcnt(0)
	v_lshrrev_b32_e32 v53, 16, v29
	s_movk_i32 s1, 0x38b4
	s_mov_b32 s14, 0xb8b4
	s_movk_i32 s4, 0x34f2
	v_lshrrev_b32_e32 v30, 16, v11
	v_lshrrev_b32_e32 v46, 16, v16
	;; [unrolled: 1-line block ×7, first 2 shown]
	s_waitcnt lgkmcnt(0)
	; wave barrier
	v_lshlrev_b32_e32 v27, 3, v35
	s_waitcnt vmcnt(1)
	v_mul_f16_sdwa v55, v14, v0 dst_sel:DWORD dst_unused:UNUSED_PAD src0_sel:DWORD src1_sel:WORD_1
	v_mul_f16_sdwa v56, v32, v1 dst_sel:DWORD dst_unused:UNUSED_PAD src0_sel:DWORD src1_sel:WORD_1
	;; [unrolled: 1-line block ×7, first 2 shown]
	v_fma_f16 v31, v31, v0, v55
	v_fma_f16 v15, v15, v1, -v56
	v_fma_f16 v18, v18, v2, -v58
	s_waitcnt vmcnt(0)
	v_mul_f16_sdwa v55, v22, v4 dst_sel:DWORD dst_unused:UNUSED_PAD src0_sel:DWORD src1_sel:WORD_1
	v_mul_f16_sdwa v60, v34, v3 dst_sel:DWORD dst_unused:UNUSED_PAD src0_sel:DWORD src1_sel:WORD_1
	v_fma_f16 v14, v14, v0, -v54
	v_fma_f16 v34, v34, v3, v61
	v_mul_f16_sdwa v54, v50, v4 dst_sel:DWORD dst_unused:UNUSED_PAD src0_sel:DWORD src1_sel:WORD_1
	v_mul_f16_sdwa v56, v51, v5 dst_sel:DWORD dst_unused:UNUSED_PAD src0_sel:DWORD src1_sel:WORD_1
	v_fma_f16 v50, v50, v4, v55
	v_add_f16_e32 v55, v15, v18
	v_fma_f16 v32, v32, v1, v57
	v_fma_f16 v33, v33, v2, v59
	v_fma_f16 v19, v19, v3, -v60
	v_mul_f16_sdwa v57, v17, v5 dst_sel:DWORD dst_unused:UNUSED_PAD src0_sel:DWORD src1_sel:WORD_1
	v_mul_f16_sdwa v58, v52, v6 dst_sel:DWORD dst_unused:UNUSED_PAD src0_sel:DWORD src1_sel:WORD_1
	;; [unrolled: 1-line block ×3, first 2 shown]
	v_fma_f16 v17, v17, v5, -v56
	v_fma_f16 v55, v55, -0.5, v11
	v_sub_f16_e32 v56, v31, v34
	v_fma_f16 v51, v51, v5, v57
	v_fma_f16 v24, v24, v6, -v58
	v_fma_f16 v52, v52, v6, v59
	v_fma_f16 v57, v56, s0, v55
	v_sub_f16_e32 v58, v32, v33
	v_sub_f16_e32 v59, v14, v15
	;; [unrolled: 1-line block ×3, first 2 shown]
	v_fma_f16 v55, v56, s5, v55
	v_fma_f16 v22, v22, v4, -v54
	v_mul_f16_sdwa v54, v53, v7 dst_sel:DWORD dst_unused:UNUSED_PAD src0_sel:DWORD src1_sel:WORD_1
	v_fma_f16 v57, v58, s1, v57
	v_add_f16_e32 v59, v59, v60
	v_fma_f16 v55, v58, s14, v55
	v_fma_f16 v54, v29, v7, -v54
	v_mul_f16_sdwa v29, v29, v7 dst_sel:DWORD dst_unused:UNUSED_PAD src0_sel:DWORD src1_sel:WORD_1
	v_fma_f16 v57, v59, s4, v57
	v_fma_f16 v55, v59, s4, v55
	v_add_f16_e32 v59, v14, v19
	v_fma_f16 v29, v53, v7, v29
	v_add_f16_e32 v53, v11, v14
	v_fma_f16 v11, v59, -0.5, v11
	v_add_f16_e32 v53, v53, v15
	v_fma_f16 v59, v58, s5, v11
	v_fma_f16 v11, v58, s0, v11
	v_add_f16_e32 v58, v32, v33
	v_add_f16_e32 v53, v53, v18
	v_sub_f16_e32 v60, v15, v14
	v_sub_f16_e32 v61, v18, v19
	v_fma_f16 v58, v58, -0.5, v30
	v_sub_f16_e32 v14, v14, v19
	v_add_f16_e32 v53, v53, v19
	v_fma_f16 v59, v56, s1, v59
	v_add_f16_e32 v60, v60, v61
	v_fma_f16 v11, v56, s14, v11
	v_fma_f16 v19, v14, s5, v58
	v_sub_f16_e32 v15, v15, v18
	v_fma_f16 v59, v60, s4, v59
	v_fma_f16 v11, v60, s4, v11
	v_fma_f16 v18, v15, s14, v19
	v_sub_f16_e32 v19, v31, v32
	v_sub_f16_e32 v60, v34, v33
	v_fma_f16 v58, v14, s0, v58
	v_add_f16_e32 v19, v19, v60
	v_fma_f16 v58, v15, s1, v58
	v_fma_f16 v18, v19, s4, v18
	;; [unrolled: 1-line block ×3, first 2 shown]
	v_add_f16_e32 v58, v31, v34
	v_mul_f16_sdwa v64, v46, v1 dst_sel:DWORD dst_unused:UNUSED_PAD src0_sel:DWORD src1_sel:WORD_1
	v_mul_f16_sdwa v66, v47, v2 dst_sel:DWORD dst_unused:UNUSED_PAD src0_sel:DWORD src1_sel:WORD_1
	v_add_f16_e32 v56, v30, v31
	v_fma_f16 v30, v58, -0.5, v30
	v_mul_f16_sdwa v63, v21, v0 dst_sel:DWORD dst_unused:UNUSED_PAD src0_sel:DWORD src1_sel:WORD_1
	v_mul_f16_sdwa v65, v16, v1 dst_sel:DWORD dst_unused:UNUSED_PAD src0_sel:DWORD src1_sel:WORD_1
	;; [unrolled: 1-line block ×4, first 2 shown]
	v_fma_f16 v16, v16, v1, -v64
	v_fma_f16 v23, v23, v2, -v66
	v_add_f16_e32 v56, v56, v32
	v_fma_f16 v58, v15, s0, v30
	v_sub_f16_e32 v31, v32, v31
	v_sub_f16_e32 v32, v33, v34
	v_fma_f16 v15, v15, s5, v30
	v_mul_f16_sdwa v62, v45, v0 dst_sel:DWORD dst_unused:UNUSED_PAD src0_sel:DWORD src1_sel:WORD_1
	v_mul_f16_sdwa v68, v48, v3 dst_sel:DWORD dst_unused:UNUSED_PAD src0_sel:DWORD src1_sel:WORD_1
	v_fma_f16 v45, v45, v0, v63
	v_fma_f16 v48, v48, v3, v69
	v_fma_f16 v58, v14, s14, v58
	v_add_f16_e32 v31, v31, v32
	v_fma_f16 v14, v14, s1, v15
	v_add_f16_e32 v30, v16, v23
	v_fma_f16 v21, v21, v0, -v62
	v_fma_f16 v46, v46, v1, v65
	v_fma_f16 v47, v47, v2, v67
	v_fma_f16 v20, v20, v3, -v68
	v_add_f16_e32 v56, v56, v33
	v_fma_f16 v32, v31, s4, v58
	v_fma_f16 v14, v31, s4, v14
	v_fma_f16 v30, v30, -0.5, v12
	v_sub_f16_e32 v31, v45, v48
	v_add_f16_e32 v56, v56, v34
	v_fma_f16 v33, v31, s0, v30
	v_sub_f16_e32 v34, v46, v47
	v_sub_f16_e32 v58, v21, v16
	;; [unrolled: 1-line block ×3, first 2 shown]
	v_fma_f16 v30, v31, s5, v30
	v_fma_f16 v33, v34, s1, v33
	v_add_f16_e32 v58, v58, v60
	v_fma_f16 v30, v34, s14, v30
	v_add_f16_e32 v15, v12, v21
	v_fma_f16 v33, v58, s4, v33
	v_fma_f16 v30, v58, s4, v30
	v_add_f16_e32 v58, v21, v20
	v_add_f16_e32 v15, v15, v16
	v_fma_f16 v12, v58, -0.5, v12
	v_add_f16_e32 v15, v15, v23
	v_fma_f16 v58, v34, s5, v12
	v_sub_f16_e32 v60, v16, v21
	v_sub_f16_e32 v61, v23, v20
	v_fma_f16 v12, v34, s0, v12
	v_add_f16_e32 v34, v46, v47
	v_add_f16_e32 v15, v15, v20
	v_fma_f16 v58, v31, s1, v58
	v_add_f16_e32 v60, v60, v61
	v_fma_f16 v12, v31, s14, v12
	v_fma_f16 v34, v34, -0.5, v44
	v_sub_f16_e32 v20, v21, v20
	v_fma_f16 v58, v60, s4, v58
	v_fma_f16 v12, v60, s4, v12
	;; [unrolled: 1-line block ×3, first 2 shown]
	v_sub_f16_e32 v16, v16, v23
	v_sub_f16_e32 v23, v45, v46
	;; [unrolled: 1-line block ×3, first 2 shown]
	v_fma_f16 v34, v20, s0, v34
	v_fma_f16 v21, v16, s14, v21
	v_add_f16_e32 v23, v23, v60
	v_fma_f16 v34, v16, s1, v34
	v_fma_f16 v21, v23, s4, v21
	;; [unrolled: 1-line block ×3, first 2 shown]
	v_add_f16_e32 v34, v45, v48
	v_add_f16_e32 v31, v44, v45
	v_fma_f16 v34, v34, -0.5, v44
	v_add_f16_e32 v31, v31, v46
	v_fma_f16 v44, v16, s0, v34
	v_sub_f16_e32 v45, v46, v45
	v_sub_f16_e32 v46, v47, v48
	v_fma_f16 v16, v16, s5, v34
	v_fma_f16 v44, v20, s14, v44
	v_add_f16_e32 v45, v45, v46
	v_fma_f16 v16, v20, s1, v16
	v_add_f16_e32 v34, v17, v24
	v_add_f16_e32 v31, v31, v47
	v_fma_f16 v44, v45, s4, v44
	v_fma_f16 v16, v45, s4, v16
	v_fma_f16 v34, v34, -0.5, v13
	v_sub_f16_e32 v45, v50, v29
	v_add_f16_e32 v31, v31, v48
	v_fma_f16 v46, v45, s0, v34
	v_sub_f16_e32 v47, v51, v52
	v_sub_f16_e32 v48, v22, v17
	;; [unrolled: 1-line block ×3, first 2 shown]
	v_fma_f16 v34, v45, s5, v34
	v_fma_f16 v46, v47, s1, v46
	v_add_f16_e32 v48, v48, v60
	v_fma_f16 v34, v47, s14, v34
	v_fma_f16 v46, v48, s4, v46
	;; [unrolled: 1-line block ×3, first 2 shown]
	v_add_f16_e32 v48, v22, v54
	v_add_f16_e32 v20, v13, v22
	v_fma_f16 v13, v48, -0.5, v13
	v_add_f16_e32 v20, v20, v17
	v_fma_f16 v48, v47, s5, v13
	v_fma_f16 v13, v47, s0, v13
	v_add_f16_e32 v47, v51, v52
	v_add_f16_e32 v20, v20, v24
	v_sub_f16_e32 v60, v17, v22
	v_sub_f16_e32 v61, v24, v54
	v_fma_f16 v47, v47, -0.5, v49
	v_sub_f16_e32 v22, v22, v54
	v_add_f16_e32 v20, v20, v54
	v_fma_f16 v48, v45, s1, v48
	v_add_f16_e32 v60, v60, v61
	v_fma_f16 v13, v45, s14, v13
	v_fma_f16 v54, v22, s5, v47
	v_sub_f16_e32 v17, v17, v24
	v_fma_f16 v48, v60, s4, v48
	v_fma_f16 v13, v60, s4, v13
	;; [unrolled: 1-line block ×3, first 2 shown]
	v_sub_f16_e32 v54, v50, v51
	v_sub_f16_e32 v60, v29, v52
	v_fma_f16 v47, v22, s0, v47
	v_add_f16_e32 v54, v54, v60
	v_fma_f16 v47, v17, s1, v47
	v_fma_f16 v24, v54, s4, v24
	;; [unrolled: 1-line block ×3, first 2 shown]
	v_add_f16_e32 v54, v50, v29
	v_add_f16_e32 v45, v49, v50
	v_fma_f16 v49, v54, -0.5, v49
	v_fma_f16 v54, v17, s0, v49
	v_fma_f16 v17, v17, s5, v49
	;; [unrolled: 1-line block ×4, first 2 shown]
	v_pack_b32_f16 v22, v53, v56
	v_pack_b32_f16 v18, v57, v18
	ds_write2_b32 v43, v22, v18 offset1:17
	v_pack_b32_f16 v18, v59, v32
	v_pack_b32_f16 v11, v11, v14
	v_add_f16_e32 v45, v45, v51
	ds_write2_b32 v43, v18, v11 offset0:34 offset1:51
	v_pack_b32_f16 v11, v55, v19
	v_pack_b32_f16 v14, v15, v31
	v_add_f16_e32 v45, v45, v52
	ds_write2_b32 v43, v11, v14 offset0:68 offset1:85
	v_pack_b32_f16 v11, v33, v21
	v_pack_b32_f16 v14, v58, v44
	v_add_f16_e32 v45, v45, v29
	v_sub_f16_e32 v50, v51, v50
	v_sub_f16_e32 v29, v52, v29
	ds_write2_b32 v43, v11, v14 offset0:102 offset1:119
	v_pack_b32_f16 v11, v12, v16
	v_pack_b32_f16 v12, v30, v23
	v_add_f16_e32 v29, v50, v29
	ds_write2_b32 v43, v11, v12 offset0:136 offset1:153
	v_and_b32_e32 v11, 0xff, v26
	v_fma_f16 v50, v29, s4, v54
	v_fma_f16 v17, v29, s4, v17
	v_add_lshl_u32 v44, v37, v11, 2
	v_pack_b32_f16 v11, v20, v45
	v_pack_b32_f16 v12, v46, v24
	ds_write2_b32 v44, v11, v12 offset0:170 offset1:187
	v_pack_b32_f16 v11, v48, v50
	v_pack_b32_f16 v12, v13, v17
	ds_write2_b32 v44, v11, v12 offset0:204 offset1:221
	v_pack_b32_f16 v11, v34, v47
	ds_write_b32 v44, v11 offset:952
	v_sub_co_u32_e64 v11, s[0:1], v9, v27
	v_subbrev_co_u32_e64 v12, s[0:1], 0, v28, s[0:1]
	s_waitcnt lgkmcnt(0)
	; wave barrier
	s_waitcnt lgkmcnt(0)
	global_load_dwordx2 v[11:12], v[11:12], off offset:272
	v_add_u32_e32 v9, 0x88, v27
	global_load_dwordx2 v[13:14], v9, s[2:3] offset:272
	v_lshlrev_b32_e32 v9, 3, v25
	global_load_dwordx2 v[15:16], v9, s[2:3] offset:272
	v_add_u32_e32 v9, 0x198, v27
	global_load_dwordx2 v[17:18], v9, s[2:3] offset:272
	v_add_u32_e32 v9, 0x220, v27
	global_load_dwordx2 v[19:20], v9, s[2:3] offset:272
	ds_read2_b32 v[24:25], v43 offset1:17
	ds_read2_b32 v[45:46], v43 offset0:68 offset1:85
	ds_read2_b32 v[21:22], v43 offset0:170 offset1:187
	;; [unrolled: 1-line block ×5, first 2 shown]
	s_waitcnt lgkmcnt(4)
	v_lshrrev_b32_e32 v23, 16, v46
	s_waitcnt lgkmcnt(3)
	v_lshrrev_b32_e32 v34, 16, v21
	;; [unrolled: 2-line block ×3, first 2 shown]
	v_lshrrev_b32_e32 v49, 16, v22
	v_lshrrev_b32_e32 v50, 16, v27
	s_waitcnt lgkmcnt(1)
	v_lshrrev_b32_e32 v51, 16, v28
	s_waitcnt lgkmcnt(0)
	v_lshrrev_b32_e32 v53, 16, v32
	ds_read_b32 v52, v43 offset:952
	v_lshrrev_b32_e32 v54, 16, v29
	v_lshrrev_b32_e32 v55, 16, v33
	;; [unrolled: 1-line block ×3, first 2 shown]
	s_movk_i32 s0, 0x3aee
	s_waitcnt lgkmcnt(0)
	v_lshrrev_b32_e32 v57, 16, v52
	s_mov_b32 s1, 0xbaee
	ds_read2_b32 v[30:31], v43 offset0:34 offset1:51
	v_lshrrev_b32_e32 v47, 16, v25
	v_lshrrev_b32_e32 v62, 16, v45
	s_waitcnt lgkmcnt(0)
	v_lshrrev_b32_e32 v56, 16, v30
	v_lshrrev_b32_e32 v59, 16, v31
	s_waitcnt vmcnt(4)
	v_mul_f16_sdwa v58, v23, v11 dst_sel:DWORD dst_unused:UNUSED_PAD src0_sel:DWORD src1_sel:WORD_1
	v_fma_f16 v58, v46, v11, -v58
	v_mul_f16_sdwa v46, v46, v11 dst_sel:DWORD dst_unused:UNUSED_PAD src0_sel:DWORD src1_sel:WORD_1
	v_fma_f16 v60, v23, v11, v46
	v_mul_f16_sdwa v23, v34, v12 dst_sel:DWORD dst_unused:UNUSED_PAD src0_sel:DWORD src1_sel:WORD_1
	v_fma_f16 v61, v21, v12, -v23
	v_mul_f16_sdwa v21, v21, v12 dst_sel:DWORD dst_unused:UNUSED_PAD src0_sel:DWORD src1_sel:WORD_1
	v_fma_f16 v34, v34, v12, v21
	s_waitcnt vmcnt(3)
	v_mul_f16_sdwa v21, v48, v13 dst_sel:DWORD dst_unused:UNUSED_PAD src0_sel:DWORD src1_sel:WORD_1
	v_fma_f16 v63, v26, v13, -v21
	v_mul_f16_sdwa v21, v26, v13 dst_sel:DWORD dst_unused:UNUSED_PAD src0_sel:DWORD src1_sel:WORD_1
	v_fma_f16 v48, v48, v13, v21
	v_mul_f16_sdwa v21, v49, v14 dst_sel:DWORD dst_unused:UNUSED_PAD src0_sel:DWORD src1_sel:WORD_1
	v_fma_f16 v64, v22, v14, -v21
	v_mul_f16_sdwa v21, v22, v14 dst_sel:DWORD dst_unused:UNUSED_PAD src0_sel:DWORD src1_sel:WORD_1
	v_fma_f16 v49, v49, v14, v21
	;; [unrolled: 9-line block ×4, first 2 shown]
	s_waitcnt vmcnt(0)
	v_mul_f16_sdwa v21, v55, v19 dst_sel:DWORD dst_unused:UNUSED_PAD src0_sel:DWORD src1_sel:WORD_1
	v_fma_f16 v73, v33, v19, -v21
	v_mul_f16_sdwa v21, v33, v19 dst_sel:DWORD dst_unused:UNUSED_PAD src0_sel:DWORD src1_sel:WORD_1
	v_fma_f16 v74, v55, v19, v21
	v_mul_f16_sdwa v21, v57, v20 dst_sel:DWORD dst_unused:UNUSED_PAD src0_sel:DWORD src1_sel:WORD_1
	v_fma_f16 v75, v52, v20, -v21
	v_mul_f16_sdwa v21, v52, v20 dst_sel:DWORD dst_unused:UNUSED_PAD src0_sel:DWORD src1_sel:WORD_1
	v_add_f16_e32 v22, v58, v61
	v_fma_f16 v76, v57, v20, v21
	v_add_f16_e32 v21, v24, v58
	v_fma_f16 v23, v22, -0.5, v24
	v_sub_f16_e32 v24, v60, v34
	v_fma_f16 v22, v24, s0, v23
	v_fma_f16 v23, v24, s1, v23
	v_add_f16_e32 v24, v9, v60
	v_add_f16_e32 v46, v24, v34
	v_add_f16_e32 v24, v60, v34
	v_fma_f16 v9, v24, -0.5, v9
	v_sub_f16_e32 v24, v58, v61
	v_fma_f16 v50, v24, s1, v9
	v_fma_f16 v51, v24, s0, v9
	v_add_f16_e32 v9, v25, v63
	v_add_f16_e32 v24, v9, v64
	v_add_f16_e32 v9, v63, v64
	v_fma_f16 v9, v9, -0.5, v25
	v_sub_f16_e32 v26, v48, v49
	v_fma_f16 v25, v26, s0, v9
	v_fma_f16 v26, v26, s1, v9
	v_add_f16_e32 v9, v47, v48
	v_add_f16_e32 v52, v9, v49
	v_add_f16_e32 v9, v48, v49
	v_fma_f16 v9, v9, -0.5, v47
	v_sub_f16_e32 v27, v63, v64
	v_fma_f16 v53, v27, s1, v9
	v_fma_f16 v54, v27, s0, v9
	v_add_f16_e32 v9, v30, v65
	v_add_f16_e32 v27, v9, v67
	v_add_f16_e32 v9, v65, v67
	v_fma_f16 v9, v9, -0.5, v30
	v_sub_f16_e32 v29, v66, v68
	v_fma_f16 v28, v29, s0, v9
	v_fma_f16 v29, v29, s1, v9
	v_add_f16_e32 v9, v56, v66
	v_add_f16_e32 v55, v9, v68
	v_add_f16_e32 v9, v66, v68
	v_fma_f16 v9, v9, -0.5, v56
	v_sub_f16_e32 v30, v65, v67
	v_fma_f16 v56, v30, s1, v9
	v_fma_f16 v57, v30, s0, v9
	v_add_f16_e32 v9, v31, v69
	v_add_f16_e32 v30, v9, v71
	v_add_f16_e32 v9, v69, v71
	v_fma_f16 v9, v9, -0.5, v31
	v_sub_f16_e32 v32, v70, v72
	v_fma_f16 v31, v32, s0, v9
	v_fma_f16 v32, v32, s1, v9
	v_add_f16_e32 v9, v59, v70
	v_add_f16_e32 v58, v9, v72
	v_add_f16_e32 v9, v70, v72
	v_fma_f16 v9, v9, -0.5, v59
	v_sub_f16_e32 v33, v69, v71
	v_fma_f16 v59, v33, s1, v9
	v_fma_f16 v60, v33, s0, v9
	v_add_f16_e32 v9, v45, v73
	v_add_f16_e32 v33, v9, v75
	v_add_f16_e32 v9, v73, v75
	v_fma_f16 v9, v9, -0.5, v45
	v_sub_f16_e32 v45, v74, v76
	v_fma_f16 v34, v45, s0, v9
	v_fma_f16 v9, v45, s1, v9
	v_add_f16_e32 v45, v62, v74
	v_add_f16_e32 v21, v21, v61
	v_add_f16_e32 v61, v45, v76
	v_add_f16_e32 v45, v74, v76
	v_fma_f16 v45, v45, -0.5, v62
	v_sub_f16_e32 v47, v73, v75
	v_fma_f16 v62, v47, s1, v45
	v_fma_f16 v63, v47, s0, v45
	v_lshl_add_u32 v45, v35, 2, v38
	v_pack_b32_f16 v47, v21, v46
	v_pack_b32_f16 v64, v24, v52
	;; [unrolled: 1-line block ×3, first 2 shown]
	ds_write2_b32 v45, v47, v64 offset1:17
	v_pack_b32_f16 v47, v25, v53
	v_pack_b32_f16 v49, v23, v51
	ds_write2_b32 v45, v48, v47 offset0:85 offset1:102
	v_pack_b32_f16 v47, v26, v54
	ds_write2_b32 v45, v49, v47 offset0:170 offset1:187
	v_pack_b32_f16 v47, v27, v55
	ds_write_b32 v45, v47 offset:136
	v_add_u32_e32 v47, v36, v38
	v_pack_b32_f16 v48, v28, v56
	ds_write_b32 v47, v48 offset:476
	v_pack_b32_f16 v48, v29, v57
	ds_write_b32 v47, v48 offset:816
	;; [unrolled: 2-line block ×8, first 2 shown]
	s_waitcnt lgkmcnt(0)
	; wave barrier
	s_waitcnt lgkmcnt(0)
	s_and_saveexec_b64 s[0:1], vcc
	s_cbranch_execz .LBB0_9
; %bb.8:
	global_load_dword v74, v36, s[6:7] offset:1020
	s_add_u32 s2, s6, 0x3fc
	s_addc_u32 s3, s7, 0
	global_load_dword v75, v36, s[2:3] offset:60
	global_load_dword v76, v36, s[2:3] offset:120
	;; [unrolled: 1-line block ×10, first 2 shown]
	ds_read2_b32 v[48:49], v45 offset1:15
	ds_read2_b32 v[64:65], v45 offset0:30 offset1:45
	ds_read2_b32 v[66:67], v45 offset0:60 offset1:75
	;; [unrolled: 1-line block ×3, first 2 shown]
	global_load_dword v85, v36, s[2:3] offset:660
	ds_read2_b32 v[70:71], v45 offset0:120 offset1:135
	ds_read2_b32 v[72:73], v45 offset0:150 offset1:165
	global_load_dword v86, v36, s[2:3] offset:720
	global_load_dword v87, v36, s[2:3] offset:780
	;; [unrolled: 1-line block ×5, first 2 shown]
	s_waitcnt lgkmcnt(5)
	v_lshrrev_b32_e32 v91, 16, v48
	v_lshrrev_b32_e32 v92, 16, v49
	s_waitcnt lgkmcnt(4)
	v_lshrrev_b32_e32 v93, 16, v64
	v_lshrrev_b32_e32 v94, 16, v65
	s_waitcnt lgkmcnt(3)
	v_lshrrev_b32_e32 v95, 16, v66
	v_lshrrev_b32_e32 v96, 16, v67
	s_waitcnt lgkmcnt(2)
	v_lshrrev_b32_e32 v97, 16, v68
	v_lshrrev_b32_e32 v98, 16, v69
	s_waitcnt lgkmcnt(1)
	v_lshrrev_b32_e32 v99, 16, v70
	v_lshrrev_b32_e32 v100, 16, v71
	s_waitcnt vmcnt(13)
	v_mul_f16_sdwa v103, v94, v77 dst_sel:DWORD dst_unused:UNUSED_PAD src0_sel:DWORD src1_sel:WORD_1
	v_mul_f16_sdwa v104, v65, v77 dst_sel:DWORD dst_unused:UNUSED_PAD src0_sel:DWORD src1_sel:WORD_1
	s_waitcnt vmcnt(12)
	v_mul_f16_sdwa v105, v95, v78 dst_sel:DWORD dst_unused:UNUSED_PAD src0_sel:DWORD src1_sel:WORD_1
	v_mul_f16_sdwa v106, v66, v78 dst_sel:DWORD dst_unused:UNUSED_PAD src0_sel:DWORD src1_sel:WORD_1
	;; [unrolled: 1-line block ×4, first 2 shown]
	v_fma_f16 v48, v48, v74, -v101
	v_fma_f16 v74, v91, v74, v102
	v_pack_b32_f16 v48, v48, v74
	v_mul_f16_sdwa v74, v92, v75 dst_sel:DWORD dst_unused:UNUSED_PAD src0_sel:DWORD src1_sel:WORD_1
	v_mul_f16_sdwa v91, v49, v75 dst_sel:DWORD dst_unused:UNUSED_PAD src0_sel:DWORD src1_sel:WORD_1
	;; [unrolled: 1-line block ×4, first 2 shown]
	s_waitcnt vmcnt(11)
	v_mul_f16_sdwa v107, v96, v79 dst_sel:DWORD dst_unused:UNUSED_PAD src0_sel:DWORD src1_sel:WORD_1
	v_mul_f16_sdwa v108, v67, v79 dst_sel:DWORD dst_unused:UNUSED_PAD src0_sel:DWORD src1_sel:WORD_1
	s_waitcnt vmcnt(10)
	v_mul_f16_sdwa v109, v97, v80 dst_sel:DWORD dst_unused:UNUSED_PAD src0_sel:DWORD src1_sel:WORD_1
	v_mul_f16_sdwa v110, v68, v80 dst_sel:DWORD dst_unused:UNUSED_PAD src0_sel:DWORD src1_sel:WORD_1
	s_waitcnt vmcnt(9)
	v_mul_f16_sdwa v111, v98, v81 dst_sel:DWORD dst_unused:UNUSED_PAD src0_sel:DWORD src1_sel:WORD_1
	v_mul_f16_sdwa v112, v69, v81 dst_sel:DWORD dst_unused:UNUSED_PAD src0_sel:DWORD src1_sel:WORD_1
	v_fma_f16 v49, v49, v75, -v74
	v_fma_f16 v74, v92, v75, v91
	v_fma_f16 v64, v64, v76, -v101
	v_fma_f16 v75, v93, v76, v102
	;; [unrolled: 2-line block ×7, first 2 shown]
	v_pack_b32_f16 v49, v49, v74
	s_waitcnt vmcnt(8)
	v_mul_f16_sdwa v113, v99, v82 dst_sel:DWORD dst_unused:UNUSED_PAD src0_sel:DWORD src1_sel:WORD_1
	v_mul_f16_sdwa v114, v70, v82 dst_sel:DWORD dst_unused:UNUSED_PAD src0_sel:DWORD src1_sel:WORD_1
	s_waitcnt vmcnt(7)
	v_mul_f16_sdwa v115, v100, v83 dst_sel:DWORD dst_unused:UNUSED_PAD src0_sel:DWORD src1_sel:WORD_1
	v_pack_b32_f16 v64, v64, v75
	v_pack_b32_f16 v65, v65, v76
	;; [unrolled: 1-line block ×6, first 2 shown]
	ds_write2_b32 v45, v48, v49 offset1:15
	ds_write2_b32 v45, v64, v65 offset0:30 offset1:45
	ds_write2_b32 v45, v66, v67 offset0:60 offset1:75
	;; [unrolled: 1-line block ×3, first 2 shown]
	v_mul_f16_sdwa v48, v71, v83 dst_sel:DWORD dst_unused:UNUSED_PAD src0_sel:DWORD src1_sel:WORD_1
	v_fma_f16 v70, v70, v82, -v113
	v_fma_f16 v81, v99, v82, v114
	v_fma_f16 v82, v71, v83, -v115
	v_fma_f16 v48, v100, v83, v48
	v_pack_b32_f16 v70, v70, v81
	v_pack_b32_f16 v48, v82, v48
	ds_write2_b32 v45, v70, v48 offset0:120 offset1:135
	s_waitcnt lgkmcnt(5)
	v_lshrrev_b32_e32 v48, 16, v72
	s_waitcnt vmcnt(6)
	v_mul_f16_sdwa v49, v48, v84 dst_sel:DWORD dst_unused:UNUSED_PAD src0_sel:DWORD src1_sel:WORD_1
	v_mul_f16_sdwa v64, v72, v84 dst_sel:DWORD dst_unused:UNUSED_PAD src0_sel:DWORD src1_sel:WORD_1
	v_fma_f16 v49, v72, v84, -v49
	v_fma_f16 v48, v48, v84, v64
	v_lshrrev_b32_e32 v65, 16, v73
	v_pack_b32_f16 v64, v49, v48
	s_waitcnt vmcnt(5)
	v_mul_f16_sdwa v48, v65, v85 dst_sel:DWORD dst_unused:UNUSED_PAD src0_sel:DWORD src1_sel:WORD_1
	v_fma_f16 v66, v73, v85, -v48
	ds_read2_b32 v[48:49], v45 offset0:180 offset1:195
	v_mul_f16_sdwa v67, v73, v85 dst_sel:DWORD dst_unused:UNUSED_PAD src0_sel:DWORD src1_sel:WORD_1
	v_fma_f16 v65, v65, v85, v67
	v_pack_b32_f16 v65, v66, v65
	ds_write2_b32 v45, v64, v65 offset0:150 offset1:165
	s_waitcnt lgkmcnt(1)
	v_lshrrev_b32_e32 v64, 16, v48
	s_waitcnt vmcnt(4)
	v_mul_f16_sdwa v65, v64, v86 dst_sel:DWORD dst_unused:UNUSED_PAD src0_sel:DWORD src1_sel:WORD_1
	v_fma_f16 v65, v48, v86, -v65
	v_mul_f16_sdwa v48, v48, v86 dst_sel:DWORD dst_unused:UNUSED_PAD src0_sel:DWORD src1_sel:WORD_1
	v_lshrrev_b32_e32 v66, 16, v49
	v_fma_f16 v48, v64, v86, v48
	s_waitcnt vmcnt(3)
	v_mul_f16_sdwa v64, v66, v87 dst_sel:DWORD dst_unused:UNUSED_PAD src0_sel:DWORD src1_sel:WORD_1
	v_pack_b32_f16 v48, v65, v48
	v_fma_f16 v67, v49, v87, -v64
	ds_read2_b32 v[64:65], v45 offset0:210 offset1:225
	v_mul_f16_sdwa v49, v49, v87 dst_sel:DWORD dst_unused:UNUSED_PAD src0_sel:DWORD src1_sel:WORD_1
	v_fma_f16 v49, v66, v87, v49
	v_pack_b32_f16 v49, v67, v49
	ds_write2_b32 v45, v48, v49 offset0:180 offset1:195
	s_waitcnt lgkmcnt(1)
	v_lshrrev_b32_e32 v48, 16, v64
	s_waitcnt vmcnt(2)
	v_mul_f16_sdwa v49, v48, v88 dst_sel:DWORD dst_unused:UNUSED_PAD src0_sel:DWORD src1_sel:WORD_1
	v_fma_f16 v49, v64, v88, -v49
	v_mul_f16_sdwa v64, v64, v88 dst_sel:DWORD dst_unused:UNUSED_PAD src0_sel:DWORD src1_sel:WORD_1
	v_fma_f16 v48, v48, v88, v64
	v_pack_b32_f16 v48, v49, v48
	v_lshrrev_b32_e32 v49, 16, v65
	ds_read_b32 v66, v45 offset:960
	s_waitcnt vmcnt(1)
	v_mul_f16_sdwa v64, v49, v89 dst_sel:DWORD dst_unused:UNUSED_PAD src0_sel:DWORD src1_sel:WORD_1
	v_fma_f16 v64, v65, v89, -v64
	v_mul_f16_sdwa v65, v65, v89 dst_sel:DWORD dst_unused:UNUSED_PAD src0_sel:DWORD src1_sel:WORD_1
	v_fma_f16 v49, v49, v89, v65
	v_pack_b32_f16 v49, v64, v49
	ds_write2_b32 v45, v48, v49 offset0:210 offset1:225
	s_waitcnt lgkmcnt(1)
	v_lshrrev_b32_e32 v48, 16, v66
	s_waitcnt vmcnt(0)
	v_mul_f16_sdwa v49, v48, v90 dst_sel:DWORD dst_unused:UNUSED_PAD src0_sel:DWORD src1_sel:WORD_1
	v_mul_f16_sdwa v64, v66, v90 dst_sel:DWORD dst_unused:UNUSED_PAD src0_sel:DWORD src1_sel:WORD_1
	v_fma_f16 v49, v66, v90, -v49
	v_fma_f16 v48, v48, v90, v64
	v_pack_b32_f16 v48, v49, v48
	ds_write_b32 v45, v48 offset:960
.LBB0_9:
	s_or_b64 exec, exec, s[0:1]
	s_waitcnt lgkmcnt(0)
	; wave barrier
	s_waitcnt lgkmcnt(0)
	s_and_saveexec_b64 s[0:1], vcc
	s_cbranch_execz .LBB0_11
; %bb.10:
	ds_read2_b32 v[21:22], v45 offset1:15
	ds_read2_b32 v[23:24], v45 offset0:30 offset1:45
	ds_read2_b32 v[25:26], v45 offset0:60 offset1:75
	;; [unrolled: 1-line block ×7, first 2 shown]
	ds_read_b32 v40, v45 offset:960
	s_waitcnt lgkmcnt(8)
	v_lshrrev_b32_e32 v46, 16, v21
	v_lshrrev_b32_e32 v50, 16, v22
	s_waitcnt lgkmcnt(7)
	v_lshrrev_b32_e32 v51, 16, v23
	v_lshrrev_b32_e32 v52, 16, v24
	;; [unrolled: 3-line block ×8, first 2 shown]
	s_waitcnt lgkmcnt(0)
	v_lshrrev_b32_e32 v42, 16, v40
.LBB0_11:
	s_or_b64 exec, exec, s[0:1]
	v_add_u32_e32 v49, 0x88, v47
	v_add_u32_e32 v48, 0xcc, v47
	;; [unrolled: 1-line block ×3, first 2 shown]
	s_waitcnt lgkmcnt(0)
	; wave barrier
	s_and_saveexec_b64 s[0:1], vcc
	s_cbranch_execz .LBB0_13
; %bb.12:
	v_add_f16_e32 v86, v42, v50
	v_mul_f16_e32 v87, 0xbbdd, v86
	v_sub_f16_e32 v64, v22, v40
	s_movk_i32 s25, 0x31e1
	v_fma_f16 v65, v64, s25, v87
	v_add_f16_e32 v88, v41, v51
	v_add_f16_e32 v66, v46, v65
	v_mul_f16_e32 v89, 0x3b76, v88
	v_sub_f16_e32 v65, v23, v10
	s_mov_b32 s15, 0xb5c8
	v_fma_f16 v67, v65, s15, v89
	v_add_f16_e32 v90, v63, v52
	v_add_f16_e32 v66, v67, v66
	v_mul_f16_e32 v91, 0xbacd, v90
	v_sub_f16_e32 v67, v24, v9
	s_movk_i32 s21, 0x3836
	v_fma_f16 v68, v67, s21, v91
	v_add_f16_e32 v92, v62, v53
	v_add_f16_e32 v66, v68, v66
	v_mul_f16_e32 v93, 0x39e9, v92
	v_sub_f16_e32 v68, v25, v34
	s_mov_b32 s18, 0xb964
	v_fma_f16 v69, v68, s18, v93
	v_add_f16_e32 v94, v61, v54
	;; [unrolled: 12-line block ×3, first 2 shown]
	v_add_f16_e32 v66, v71, v66
	v_mul_f16_e32 v99, 0xb461, v98
	v_sub_f16_e32 v71, v28, v31
	s_movk_i32 s26, 0x3bb2
	v_fma_f16 v72, v71, s26, v99
	v_add_f16_e32 v100, v58, v57
	v_add_f16_e32 v66, v72, v66
	v_mul_f16_e32 v101, 0x2de8, v100
	v_sub_f16_e32 v72, v29, v30
	s_mov_b32 s23, 0xbbf7
	v_fma_f16 v73, v72, s23, v101
	v_sub_f16_e32 v102, v50, v42
	s_mov_b32 s2, 0xbbdd
	v_add_f16_e32 v66, v73, v66
	v_add_f16_e32 v73, v40, v22
	v_mul_f16_e32 v103, 0xb1e1, v102
	v_fma_f16 v74, v73, s2, v103
	v_sub_f16_e32 v104, v51, v41
	s_movk_i32 s4, 0x3b76
	v_add_f16_e32 v75, v21, v74
	v_add_f16_e32 v74, v10, v23
	v_mul_f16_e32 v105, 0x35c8, v104
	v_fma_f16 v76, v74, s4, v105
	v_sub_f16_e32 v106, v52, v63
	s_mov_b32 s3, 0xbacd
	v_add_f16_e32 v76, v76, v75
	v_add_f16_e32 v75, v9, v24
	v_mul_f16_e32 v107, 0xb836, v106
	v_fma_f16 v77, v75, s3, v107
	v_sub_f16_e32 v108, v53, v62
	s_movk_i32 s14, 0x39e9
	v_add_f16_e32 v77, v77, v76
	v_add_f16_e32 v76, v34, v25
	v_mul_f16_e32 v109, 0x3964, v108
	;; [unrolled: 12-line block ×4, first 2 shown]
	v_fma_f16 v82, v81, s19, v117
	v_mul_f16_e32 v118, 0xbacd, v86
	v_add_f16_e32 v78, v82, v78
	v_fma_f16 v82, v64, s21, v118
	v_mul_f16_e32 v119, 0x3722, v88
	s_movk_i32 s34, 0x3bf7
	v_add_f16_e32 v82, v46, v82
	v_fma_f16 v83, v65, s20, v119
	v_mul_f16_e32 v120, 0x2de8, v90
	s_mov_b32 s27, 0xba62
	v_add_f16_e32 v82, v83, v82
	v_fma_f16 v83, v67, s34, v120
	v_mul_f16_e32 v121, 0xb8d2, v92
	s_movk_i32 s28, 0x35c8
	v_add_f16_e32 v82, v83, v82
	v_fma_f16 v83, v68, s27, v121
	v_mul_f16_e32 v122, 0x3b76, v94
	v_add_f16_e32 v82, v83, v82
	v_fma_f16 v83, v69, s28, v122
	v_mul_f16_e32 v123, 0xbbdd, v96
	v_add_f16_e32 v82, v83, v82
	v_fma_f16 v83, v70, s25, v123
	v_mul_f16_e32 v124, 0x39e9, v98
	v_add_f16_e32 v82, v83, v82
	v_fma_f16 v83, v71, s18, v124
	v_mul_f16_e32 v125, 0xb461, v100
	v_add_f16_e32 v82, v83, v82
	v_fma_f16 v83, v72, s26, v125
	v_mul_f16_e32 v126, 0xb836, v102
	v_add_f16_e32 v82, v83, v82
	v_fma_f16 v83, v73, s3, v126
	v_mul_f16_e32 v127, 0x3b29, v104
	v_add_f16_e32 v83, v21, v83
	v_fma_f16 v84, v74, s16, v127
	v_mul_f16_e32 v128, 0xbbf7, v106
	v_add_f16_e32 v83, v84, v83
	v_fma_f16 v84, v75, s19, v128
	v_mul_f16_e32 v129, 0x3a62, v108
	v_add_f16_e32 v83, v84, v83
	v_fma_f16 v84, v76, s5, v129
	v_mul_f16_e32 v130, 0xb5c8, v110
	v_add_f16_e32 v83, v84, v83
	v_fma_f16 v84, v77, s4, v130
	v_mul_f16_e32 v131, 0xb1e1, v112
	v_add_f16_e32 v83, v84, v83
	v_fma_f16 v84, v79, s2, v131
	v_mul_f16_e32 v132, 0x3964, v114
	v_add_f16_e32 v83, v84, v83
	v_fma_f16 v84, v80, s14, v132
	v_mul_f16_e32 v133, 0xbbb2, v116
	v_add_f16_e32 v83, v84, v83
	v_fma_f16 v84, v81, s17, v133
	v_mul_f16_e32 v134, 0xb8d2, v86
	s_mov_b32 s29, 0xbbb2
	v_add_f16_e32 v83, v84, v83
	v_fma_f16 v84, v64, s31, v134
	v_mul_f16_e32 v135, 0xb461, v88
	v_add_f16_e32 v84, v46, v84
	v_fma_f16 v85, v65, s29, v135
	v_mul_f16_e32 v136, 0x3b76, v90
	;; [unrolled: 3-line block ×4, first 2 shown]
	s_movk_i32 s33, 0x3964
	v_add_f16_e32 v84, v85, v84
	v_fma_f16 v85, v69, s23, v138
	v_mul_f16_e32 v139, 0x39e9, v96
	v_add_f16_e32 v84, v85, v84
	v_fma_f16 v85, v70, s33, v139
	v_mul_f16_e32 v140, 0xbbdd, v98
	;; [unrolled: 3-line block ×5, first 2 shown]
	v_add_f16_e32 v85, v21, v85
	v_fma_f16 v144, v74, s17, v143
	v_add_f16_e32 v85, v144, v85
	v_mul_f16_e32 v144, 0xb5c8, v106
	v_fma_f16 v145, v75, s4, v144
	v_add_f16_e32 v85, v145, v85
	v_mul_f16_e32 v145, 0xb836, v108
	;; [unrolled: 3-line block ×7, first 2 shown]
	s_mov_b32 s24, 0xb836
	v_fma_f16 v151, v64, s26, v150
	v_mul_f16_e32 v152, 0xbacd, v88
	v_add_f16_e32 v151, v46, v151
	v_fma_f16 v153, v65, s24, v152
	v_add_f16_e32 v151, v153, v151
	v_mul_f16_e32 v153, 0x39e9, v90
	v_add_f16_e32 v22, v22, v21
	v_fma_f16 v154, v67, s18, v153
	v_add_f16_e32 v22, v23, v22
	s_movk_i32 s30, 0x3b29
	v_add_f16_e32 v151, v154, v151
	v_mul_f16_e32 v154, 0x3722, v92
	v_add_f16_e32 v22, v24, v22
	v_fma_f16 v155, v68, s30, v154
	v_add_f16_e32 v22, v25, v22
	v_add_f16_e32 v151, v155, v151
	v_mul_f16_e32 v155, 0xbbdd, v94
	v_add_f16_e32 v22, v26, v22
	v_fma_f16 v156, v69, s25, v155
	v_add_f16_e32 v22, v27, v22
	;; [unrolled: 5-line block ×5, first 2 shown]
	s_mov_b32 s22, 0xb1e1
	v_add_f16_e32 v151, v159, v151
	v_mul_f16_e32 v159, 0xbbb2, v102
	v_add_f16_e32 v22, v34, v22
	v_fma_f16 v160, v73, s17, v159
	v_mul_f16_e32 v161, 0x3836, v104
	v_add_f16_e32 v9, v9, v22
	v_fma_f16 v22, v64, s22, v87
	v_add_f16_e32 v160, v21, v160
	v_fma_f16 v162, v74, s3, v161
	;; [unrolled: 2-line block ×3, first 2 shown]
	v_add_f16_e32 v160, v162, v160
	v_mul_f16_e32 v162, 0x3964, v106
	v_add_f16_e32 v22, v23, v22
	v_fma_f16 v23, v67, s24, v91
	v_fma_f16 v163, v75, s14, v162
	v_add_f16_e32 v22, v23, v22
	v_fma_f16 v23, v68, s33, v93
	v_add_f16_e32 v160, v163, v160
	v_mul_f16_e32 v163, 0xbb29, v108
	v_add_f16_e32 v22, v23, v22
	v_fma_f16 v23, v69, s27, v95
	v_fma_f16 v164, v76, s16, v163
	v_add_f16_e32 v22, v23, v22
	v_fma_f16 v23, v70, s30, v97
	;; [unrolled: 7-line block ×3, first 2 shown]
	v_add_f16_e32 v160, v165, v160
	v_mul_f16_e32 v165, 0x3bf7, v112
	v_add_f16_e32 v22, v23, v22
	v_fma_f16 v23, v73, s2, -v103
	v_fma_f16 v166, v79, s19, v165
	v_add_f16_e32 v23, v21, v23
	v_fma_f16 v24, v74, s4, -v105
	v_add_f16_e32 v160, v166, v160
	v_mul_f16_e32 v166, 0xb5c8, v114
	v_add_f16_e32 v23, v24, v23
	v_fma_f16 v24, v75, s3, -v107
	v_fma_f16 v167, v80, s4, v166
	v_add_f16_e32 v23, v24, v23
	v_fma_f16 v24, v76, s14, -v109
	;; [unrolled: 7-line block ×3, first 2 shown]
	v_add_f16_e32 v160, v168, v160
	v_mul_f16_e32 v168, 0x2de8, v86
	v_add_f16_e32 v23, v24, v23
	v_fma_f16 v24, v80, s17, -v115
	v_fma_f16 v169, v64, s34, v168
	v_mul_f16_e32 v170, 0xbbdd, v88
	v_add_f16_e32 v23, v24, v23
	v_fma_f16 v24, v81, s19, -v117
	v_add_f16_e32 v169, v46, v169
	v_fma_f16 v171, v65, s25, v170
	v_add_f16_e32 v23, v24, v23
	v_fma_f16 v24, v64, s24, v118
	v_add_f16_e32 v169, v171, v169
	v_mul_f16_e32 v171, 0xb461, v90
	v_add_f16_e32 v24, v46, v24
	v_fma_f16 v25, v65, s30, v119
	v_fma_f16 v172, v67, s29, v171
	v_add_f16_e32 v24, v25, v24
	v_fma_f16 v25, v67, s23, v120
	v_add_f16_e32 v169, v172, v169
	v_mul_f16_e32 v172, 0x3b76, v92
	v_add_f16_e32 v24, v25, v24
	v_fma_f16 v25, v68, s31, v121
	;; [unrolled: 7-line block ×4, first 2 shown]
	v_fma_f16 v175, v70, s21, v174
	v_add_f16_e32 v24, v25, v24
	v_fma_f16 v25, v73, s3, -v126
	v_add_f16_e32 v169, v175, v169
	v_mul_f16_e32 v175, 0xb8d2, v98
	v_add_f16_e32 v25, v21, v25
	v_fma_f16 v26, v74, s16, -v127
	v_fma_f16 v176, v71, s27, v175
	v_add_f16_e32 v25, v26, v25
	v_fma_f16 v26, v75, s19, -v128
	v_add_f16_e32 v169, v176, v169
	v_mul_f16_e32 v176, 0x39e9, v100
	v_add_f16_e32 v25, v26, v25
	v_fma_f16 v26, v76, s5, -v129
	;; [unrolled: 7-line block ×3, first 2 shown]
	v_fma_f16 v178, v73, s19, v177
	v_mul_f16_e32 v179, 0xb1e1, v104
	v_add_f16_e32 v25, v26, v25
	v_fma_f16 v26, v80, s14, -v132
	v_add_f16_e32 v178, v21, v178
	v_fma_f16 v180, v74, s2, v179
	v_add_f16_e32 v25, v26, v25
	v_fma_f16 v26, v81, s17, -v133
	v_add_f16_e32 v178, v180, v178
	v_mul_f16_e32 v180, 0x3bb2, v106
	v_add_f16_e32 v25, v26, v25
	v_fma_f16 v26, v64, s27, v134
	v_fma_f16 v181, v75, s17, v180
	v_add_f16_e32 v26, v46, v26
	v_fma_f16 v27, v65, s26, v135
	v_add_f16_e32 v178, v181, v178
	v_mul_f16_e32 v181, 0x35c8, v108
	v_add_f16_e32 v26, v27, v26
	v_fma_f16 v27, v67, s15, v136
	v_fma_f16 v182, v76, s4, v181
	v_add_f16_e32 v26, v27, v26
	v_fma_f16 v27, v68, s24, v137
	;; [unrolled: 7-line block ×4, first 2 shown]
	v_add_f16_e32 v178, v184, v178
	v_mul_f16_e32 v184, 0x3a62, v114
	v_add_f16_e32 v26, v27, v26
	v_fma_f16 v27, v73, s5, -v142
	v_fma_f16 v185, v80, s5, v184
	v_add_f16_e32 v27, v21, v27
	v_fma_f16 v28, v74, s17, -v143
	v_add_f16_e32 v178, v185, v178
	v_mul_f16_e32 v185, 0x3964, v116
	v_add_f16_e32 v27, v28, v27
	v_fma_f16 v28, v75, s4, -v144
	v_fma_f16 v186, v81, s14, v185
	v_add_f16_e32 v27, v28, v27
	v_fma_f16 v28, v76, s3, -v145
	v_add_f16_e32 v178, v186, v178
	v_mul_f16_e32 v186, 0x3722, v86
	v_add_f16_e32 v27, v28, v27
	v_fma_f16 v28, v77, s19, -v146
	v_fma_f16 v187, v64, s30, v186
	v_mul_f16_e32 v188, 0xb8d2, v88
	v_add_f16_e32 v27, v28, v27
	v_fma_f16 v28, v79, s14, -v147
	v_add_f16_e32 v187, v46, v187
	v_fma_f16 v189, v65, s31, v188
	v_add_f16_e32 v27, v28, v27
	v_fma_f16 v28, v80, s2, -v148
	v_add_f16_e32 v187, v189, v187
	v_mul_f16_e32 v189, 0xbbdd, v90
	v_add_f16_e32 v27, v28, v27
	v_fma_f16 v28, v81, s16, -v149
	v_fma_f16 v190, v67, s22, v189
	v_add_f16_e32 v27, v28, v27
	v_fma_f16 v28, v64, s29, v150
	v_add_f16_e32 v187, v190, v187
	v_mul_f16_e32 v190, 0xb461, v92
	v_add_f16_e32 v28, v46, v28
	v_fma_f16 v29, v65, s21, v152
	v_fma_f16 v191, v68, s29, v190
	v_add_f16_e32 v28, v29, v28
	v_fma_f16 v29, v67, s33, v153
	v_add_f16_e32 v187, v191, v187
	v_mul_f16_e32 v191, 0x39e9, v94
	v_add_f16_e32 v28, v29, v28
	v_fma_f16 v29, v68, s20, v154
	;; [unrolled: 7-line block ×4, first 2 shown]
	v_fma_f16 v194, v71, s34, v193
	v_add_f16_e32 v28, v29, v28
	v_fma_f16 v29, v73, s17, -v159
	v_add_f16_e32 v187, v194, v187
	v_mul_f16_e32 v194, 0xbacd, v100
	v_add_f16_e32 v29, v21, v29
	v_fma_f16 v30, v74, s3, -v161
	v_fma_f16 v195, v72, s21, v194
	v_add_f16_e32 v29, v30, v29
	v_fma_f16 v30, v75, s14, -v162
	v_add_f16_e32 v187, v195, v187
	v_mul_f16_e32 v195, 0xbb29, v102
	v_add_f16_e32 v29, v30, v29
	v_fma_f16 v30, v76, s16, -v163
	v_fma_f16 v196, v73, s16, v195
	v_mul_f16_e32 v197, 0xba62, v104
	v_add_f16_e32 v29, v30, v29
	v_fma_f16 v30, v77, s2, -v164
	v_add_f16_e32 v196, v21, v196
	v_fma_f16 v198, v74, s5, v197
	v_add_f16_e32 v29, v30, v29
	v_fma_f16 v30, v79, s19, -v165
	v_add_f16_e32 v196, v198, v196
	v_mul_f16_e32 v198, 0x31e1, v106
	v_add_f16_e32 v29, v30, v29
	v_fma_f16 v30, v80, s4, -v166
	v_fma_f16 v199, v75, s2, v198
	v_add_f16_e32 v29, v30, v29
	v_fma_f16 v30, v81, s5, -v167
	v_add_f16_e32 v196, v199, v196
	v_mul_f16_e32 v199, 0x3bb2, v108
	v_add_f16_e32 v29, v30, v29
	v_fma_f16 v30, v64, s23, v168
	v_fma_f16 v200, v76, s17, v199
	v_add_f16_e32 v30, v46, v30
	v_fma_f16 v31, v65, s22, v170
	v_add_f16_e32 v196, v200, v196
	v_mul_f16_e32 v200, 0x3964, v110
	v_add_f16_e32 v30, v31, v30
	v_fma_f16 v31, v67, s26, v171
	v_fma_f16 v201, v77, s14, v200
	v_add_f16_e32 v30, v31, v30
	v_fma_f16 v31, v68, s28, v172
	;; [unrolled: 7-line block ×4, first 2 shown]
	v_add_f16_e32 v196, v203, v196
	v_mul_f16_e32 v203, 0xb836, v116
	v_add_f16_e32 v30, v31, v30
	v_fma_f16 v31, v73, s19, -v177
	v_fma_f16 v204, v81, s3, v203
	v_add_f16_e32 v31, v21, v31
	v_fma_f16 v32, v74, s2, -v179
	v_add_f16_e32 v196, v204, v196
	v_mul_f16_e32 v204, 0x39e9, v86
	v_add_f16_e32 v31, v32, v31
	v_fma_f16 v32, v75, s17, -v180
	v_fma_f16 v205, v64, s33, v204
	v_mul_f16_e32 v206, 0x2de8, v88
	v_add_f16_e32 v31, v32, v31
	v_fma_f16 v32, v76, s4, -v181
	v_add_f16_e32 v205, v46, v205
	v_fma_f16 v207, v65, s34, v206
	v_add_f16_e32 v31, v32, v31
	v_fma_f16 v32, v77, s16, -v182
	v_add_f16_e32 v205, v207, v205
	v_mul_f16_e32 v207, 0xb8d2, v90
	v_add_f16_e32 v31, v32, v31
	v_fma_f16 v32, v79, s3, -v183
	v_fma_f16 v208, v67, s31, v207
	v_add_f16_e32 v31, v32, v31
	v_fma_f16 v32, v80, s5, -v184
	v_add_f16_e32 v205, v208, v205
	v_mul_f16_e32 v208, 0xbbdd, v92
	v_add_f16_e32 v31, v32, v31
	v_fma_f16 v32, v81, s14, -v185
	v_fma_f16 v209, v68, s25, v208
	v_add_f16_e32 v31, v32, v31
	v_fma_f16 v32, v64, s20, v186
	v_add_f16_e32 v205, v209, v205
	v_mul_f16_e32 v209, 0xbacd, v94
	v_add_f16_e32 v32, v46, v32
	v_fma_f16 v33, v65, s27, v188
	v_fma_f16 v210, v69, s24, v209
	v_add_f16_e32 v32, v33, v32
	v_fma_f16 v33, v67, s25, v189
	v_add_f16_e32 v205, v210, v205
	v_mul_f16_e32 v210, 0xb461, v96
	v_add_f16_e32 v32, v33, v32
	v_fma_f16 v33, v68, s26, v190
	;; [unrolled: 7-line block ×4, first 2 shown]
	v_fma_f16 v213, v72, s15, v212
	v_add_f16_e32 v32, v33, v32
	v_fma_f16 v33, v73, s16, -v195
	v_add_f16_e32 v205, v213, v205
	v_mul_f16_e32 v213, 0xb964, v102
	v_add_f16_e32 v33, v21, v33
	v_fma_f16 v34, v74, s5, -v197
	v_fma_f16 v214, v73, s14, v213
	v_mul_f16_e32 v215, 0xbbf7, v104
	v_add_f16_e32 v33, v34, v33
	v_fma_f16 v34, v75, s2, -v198
	v_add_f16_e32 v214, v21, v214
	v_fma_f16 v216, v74, s19, v215
	v_add_f16_e32 v9, v10, v9
	v_add_f16_e32 v10, v50, v46
	;; [unrolled: 1-line block ×3, first 2 shown]
	v_fma_f16 v34, v76, s17, -v199
	v_add_f16_e32 v214, v216, v214
	v_mul_f16_e32 v216, 0xba62, v106
	v_add_f16_e32 v10, v51, v10
	v_add_f16_e32 v33, v34, v33
	v_fma_f16 v34, v77, s14, -v200
	v_fma_f16 v217, v75, s5, v216
	v_add_f16_e32 v10, v52, v10
	v_add_f16_e32 v33, v34, v33
	v_fma_f16 v34, v79, s4, -v201
	v_add_f16_e32 v214, v217, v214
	v_mul_f16_e32 v217, 0xb1e1, v108
	v_add_f16_e32 v10, v53, v10
	v_add_f16_e32 v33, v34, v33
	v_fma_f16 v34, v80, s19, -v202
	v_fma_f16 v218, v76, s2, v217
	v_add_f16_e32 v10, v54, v10
	v_add_f16_e32 v33, v34, v33
	v_fma_f16 v34, v81, s3, -v203
	v_add_f16_e32 v214, v218, v214
	v_mul_f16_e32 v218, 0x3836, v110
	v_add_f16_e32 v10, v55, v10
	v_add_f16_e32 v33, v34, v33
	v_fma_f16 v34, v64, s18, v204
	v_fma_f16 v219, v77, s3, v218
	v_add_f16_e32 v9, v40, v9
	v_add_f16_e32 v10, v56, v10
	;; [unrolled: 1-line block ×3, first 2 shown]
	v_fma_f16 v40, v65, s23, v206
	v_add_f16_e32 v214, v219, v214
	v_mul_f16_e32 v219, 0x3bb2, v112
	v_add_f16_e32 v10, v57, v10
	v_add_f16_e32 v34, v40, v34
	v_fma_f16 v40, v67, s27, v207
	v_fma_f16 v220, v79, s17, v219
	v_add_f16_e32 v10, v58, v10
	v_add_f16_e32 v34, v40, v34
	v_fma_f16 v40, v68, s22, v208
	v_add_f16_e32 v214, v220, v214
	v_mul_f16_e32 v220, 0x3b29, v114
	v_add_f16_e32 v10, v59, v10
	v_add_f16_e32 v34, v40, v34
	v_fma_f16 v40, v69, s21, v209
	v_fma_f16 v221, v80, s16, v220
	v_add_f16_e32 v10, v60, v10
	v_add_f16_e32 v34, v40, v34
	v_fma_f16 v40, v70, s26, v210
	v_add_f16_e32 v214, v221, v214
	v_mul_f16_e32 v221, 0x35c8, v116
	v_add_f16_e32 v10, v61, v10
	v_add_f16_e32 v34, v40, v34
	v_fma_f16 v40, v71, s30, v211
	v_fma_f16 v222, v81, s4, v221
	v_mul_f16_e32 v86, 0x3b76, v86
	v_add_f16_e32 v10, v62, v10
	v_add_f16_e32 v34, v40, v34
	v_fma_f16 v40, v72, s28, v212
	v_add_f16_e32 v214, v222, v214
	v_fma_f16 v222, v64, s28, v86
	v_mul_f16_e32 v88, 0x39e9, v88
	v_add_f16_e32 v10, v63, v10
	v_add_f16_e32 v34, v40, v34
	v_fma_f16 v40, v73, s14, -v213
	v_add_f16_e32 v222, v46, v222
	v_fma_f16 v223, v65, s33, v88
	v_mul_f16_e32 v90, 0x3722, v90
	v_add_f16_e32 v10, v41, v10
	v_add_f16_e32 v40, v21, v40
	v_fma_f16 v41, v74, s19, -v215
	v_add_f16_e32 v222, v223, v222
	v_fma_f16 v223, v67, s30, v90
	v_mul_f16_e32 v92, 0x2de8, v92
	v_add_f16_e32 v40, v41, v40
	v_fma_f16 v41, v75, s5, -v216
	v_add_f16_e32 v222, v223, v222
	v_fma_f16 v223, v68, s34, v92
	v_mul_f16_e32 v94, 0xb461, v94
	v_add_f16_e32 v40, v41, v40
	v_fma_f16 v41, v76, s2, -v217
	v_add_f16_e32 v222, v223, v222
	v_fma_f16 v223, v69, s26, v94
	v_mul_f16_e32 v96, 0xb8d2, v96
	v_add_f16_e32 v40, v41, v40
	v_fma_f16 v41, v77, s3, -v218
	v_add_f16_e32 v222, v223, v222
	v_fma_f16 v223, v70, s31, v96
	v_mul_f16_e32 v98, 0xbacd, v98
	v_add_f16_e32 v40, v41, v40
	v_fma_f16 v41, v79, s17, -v219
	v_add_f16_e32 v222, v223, v222
	v_fma_f16 v223, v71, s21, v98
	v_mul_f16_e32 v100, 0xbbdd, v100
	v_add_f16_e32 v40, v41, v40
	v_fma_f16 v41, v80, s16, -v220
	v_add_f16_e32 v222, v223, v222
	v_fma_f16 v223, v72, s25, v100
	v_mul_f16_e32 v102, 0xb5c8, v102
	v_add_f16_e32 v40, v41, v40
	v_fma_f16 v41, v81, s4, -v221
	v_add_f16_e32 v222, v223, v222
	v_fma_f16 v223, v73, s4, v102
	v_mul_f16_e32 v104, 0xb964, v104
	v_add_f16_e32 v40, v41, v40
	v_fma_f16 v41, v64, s15, v86
	v_add_f16_e32 v223, v21, v223
	v_fma_f16 v224, v74, s14, v104
	v_mul_f16_e32 v106, 0xbb29, v106
	v_add_f16_e32 v10, v42, v10
	v_add_f16_e32 v41, v46, v41
	v_fma_f16 v42, v65, s18, v88
	v_add_f16_e32 v223, v224, v223
	v_fma_f16 v224, v75, s16, v106
	v_mul_f16_e32 v108, 0xbbf7, v108
	v_add_f16_e32 v41, v42, v41
	v_fma_f16 v42, v67, s20, v90
	v_add_f16_e32 v223, v224, v223
	v_fma_f16 v224, v76, s19, v108
	v_mul_f16_e32 v110, 0xbbb2, v110
	;; [unrolled: 5-line block ×5, first 2 shown]
	v_add_f16_e32 v41, v42, v41
	v_fma_f16 v42, v71, s24, v98
	v_add_f16_e32 v223, v224, v223
	v_fma_f16 v224, v81, s2, v116
	;; [unrolled: 2-line block ×3, first 2 shown]
	v_add_f16_e32 v223, v224, v223
	v_add_f16_e32 v41, v42, v41
	v_fma_f16 v42, v73, s4, -v102
	v_add_f16_e32 v21, v21, v42
	v_fma_f16 v42, v74, s14, -v104
	v_lshl_add_u32 v38, v39, 2, v38
	v_pack_b32_f16 v39, v223, v222
	v_pack_b32_f16 v9, v9, v10
	v_add_f16_e32 v21, v42, v21
	v_fma_f16 v42, v75, s16, -v106
	ds_write2_b32 v38, v9, v39 offset1:1
	v_pack_b32_f16 v9, v196, v187
	v_pack_b32_f16 v10, v214, v205
	v_add_f16_e32 v21, v42, v21
	v_fma_f16 v42, v76, s19, -v108
	ds_write2_b32 v38, v10, v9 offset0:2 offset1:3
	v_pack_b32_f16 v9, v160, v151
	v_pack_b32_f16 v10, v178, v169
	v_add_f16_e32 v21, v42, v21
	v_fma_f16 v42, v77, s17, -v110
	ds_write2_b32 v38, v10, v9 offset0:4 offset1:5
	;; [unrolled: 5-line block ×5, first 2 shown]
	v_pack_b32_f16 v9, v31, v30
	v_pack_b32_f16 v10, v29, v28
	v_add_f16_e32 v21, v42, v21
	ds_write2_b32 v38, v10, v9 offset0:12 offset1:13
	v_pack_b32_f16 v9, v40, v34
	v_pack_b32_f16 v10, v33, v32
	ds_write2_b32 v38, v10, v9 offset0:14 offset1:15
	v_pack_b32_f16 v9, v21, v41
	ds_write_b32 v38, v9 offset:64
.LBB0_13:
	s_or_b64 exec, exec, s[0:1]
	s_waitcnt lgkmcnt(0)
	; wave barrier
	s_waitcnt lgkmcnt(0)
	ds_read2_b32 v[9:10], v43 offset1:17
	ds_read2_b32 v[21:22], v43 offset0:34 offset1:51
	ds_read2_b32 v[23:24], v43 offset0:102 offset1:119
	;; [unrolled: 1-line block ×5, first 2 shown]
	s_waitcnt lgkmcnt(4)
	v_lshrrev_b32_e32 v34, 16, v22
	v_mul_f16_sdwa v58, v0, v34 dst_sel:DWORD dst_unused:UNUSED_PAD src0_sel:WORD_1 src1_sel:DWORD
	s_waitcnt lgkmcnt(3)
	v_lshrrev_b32_e32 v38, 16, v23
	v_fma_f16 v58, v0, v22, v58
	v_mul_f16_sdwa v22, v0, v22 dst_sel:DWORD dst_unused:UNUSED_PAD src0_sel:WORD_1 src1_sel:DWORD
	v_fma_f16 v22, v0, v34, -v22
	v_mul_f16_sdwa v34, v1, v38 dst_sel:DWORD dst_unused:UNUSED_PAD src0_sel:WORD_1 src1_sel:DWORD
	s_waitcnt lgkmcnt(2)
	v_lshrrev_b32_e32 v39, 16, v26
	v_fma_f16 v34, v1, v23, v34
	v_mul_f16_sdwa v23, v1, v23 dst_sel:DWORD dst_unused:UNUSED_PAD src0_sel:WORD_1 src1_sel:DWORD
	v_fma_f16 v23, v1, v38, -v23
	v_mul_f16_sdwa v38, v2, v39 dst_sel:DWORD dst_unused:UNUSED_PAD src0_sel:WORD_1 src1_sel:DWORD
	s_waitcnt lgkmcnt(1)
	v_lshrrev_b32_e32 v40, 16, v27
	v_fma_f16 v38, v2, v26, v38
	v_mul_f16_sdwa v26, v2, v26 dst_sel:DWORD dst_unused:UNUSED_PAD src0_sel:WORD_1 src1_sel:DWORD
	ds_read2_b32 v[31:32], v43 offset0:170 offset1:187
	v_fma_f16 v26, v2, v39, -v26
	v_mul_f16_sdwa v39, v3, v40 dst_sel:DWORD dst_unused:UNUSED_PAD src0_sel:WORD_1 src1_sel:DWORD
	s_waitcnt lgkmcnt(1)
	v_lshrrev_b32_e32 v42, 16, v29
	v_fma_f16 v39, v3, v27, v39
	v_mul_f16_sdwa v27, v3, v27 dst_sel:DWORD dst_unused:UNUSED_PAD src0_sel:WORD_1 src1_sel:DWORD
	v_fma_f16 v27, v3, v40, -v27
	v_mul_f16_sdwa v40, v0, v42 dst_sel:DWORD dst_unused:UNUSED_PAD src0_sel:WORD_1 src1_sel:DWORD
	v_lshrrev_b32_e32 v46, 16, v24
	v_fma_f16 v40, v0, v29, v40
	v_mul_f16_sdwa v29, v0, v29 dst_sel:DWORD dst_unused:UNUSED_PAD src0_sel:WORD_1 src1_sel:DWORD
	v_fma_f16 v0, v0, v42, -v29
	v_mul_f16_sdwa v29, v1, v46 dst_sel:DWORD dst_unused:UNUSED_PAD src0_sel:WORD_1 src1_sel:DWORD
	s_waitcnt lgkmcnt(0)
	v_lshrrev_b32_e32 v50, 16, v31
	v_fma_f16 v29, v1, v24, v29
	v_mul_f16_sdwa v24, v1, v24 dst_sel:DWORD dst_unused:UNUSED_PAD src0_sel:WORD_1 src1_sel:DWORD
	v_fma_f16 v1, v1, v46, -v24
	v_mul_f16_sdwa v24, v2, v50 dst_sel:DWORD dst_unused:UNUSED_PAD src0_sel:WORD_1 src1_sel:DWORD
	v_lshrrev_b32_e32 v51, 16, v28
	v_fma_f16 v24, v2, v31, v24
	v_mul_f16_sdwa v31, v2, v31 dst_sel:DWORD dst_unused:UNUSED_PAD src0_sel:WORD_1 src1_sel:DWORD
	v_fma_f16 v2, v2, v50, -v31
	v_mul_f16_sdwa v31, v3, v51 dst_sel:DWORD dst_unused:UNUSED_PAD src0_sel:WORD_1 src1_sel:DWORD
	v_lshrrev_b32_e32 v54, 16, v30
	v_fma_f16 v31, v3, v28, v31
	v_mul_f16_sdwa v28, v3, v28 dst_sel:DWORD dst_unused:UNUSED_PAD src0_sel:WORD_1 src1_sel:DWORD
	ds_read_b32 v52, v43 offset:952
	v_fma_f16 v3, v3, v51, -v28
	v_mul_f16_sdwa v28, v4, v54 dst_sel:DWORD dst_unused:UNUSED_PAD src0_sel:WORD_1 src1_sel:DWORD
	v_lshrrev_b32_e32 v55, 16, v25
	v_fma_f16 v28, v4, v30, v28
	v_mul_f16_sdwa v30, v4, v30 dst_sel:DWORD dst_unused:UNUSED_PAD src0_sel:WORD_1 src1_sel:DWORD
	v_fma_f16 v4, v4, v54, -v30
	v_mul_f16_sdwa v30, v5, v55 dst_sel:DWORD dst_unused:UNUSED_PAD src0_sel:WORD_1 src1_sel:DWORD
	v_lshrrev_b32_e32 v56, 16, v32
	v_fma_f16 v30, v5, v25, v30
	v_mul_f16_sdwa v25, v5, v25 dst_sel:DWORD dst_unused:UNUSED_PAD src0_sel:WORD_1 src1_sel:DWORD
	v_fma_f16 v5, v5, v55, -v25
	v_mul_f16_sdwa v25, v6, v56 dst_sel:DWORD dst_unused:UNUSED_PAD src0_sel:WORD_1 src1_sel:DWORD
	s_waitcnt lgkmcnt(0)
	v_lshrrev_b32_e32 v57, 16, v52
	v_fma_f16 v25, v6, v32, v25
	v_mul_f16_sdwa v32, v6, v32 dst_sel:DWORD dst_unused:UNUSED_PAD src0_sel:WORD_1 src1_sel:DWORD
	v_add_f16_e32 v46, v34, v38
	v_fma_f16 v6, v6, v56, -v32
	v_mul_f16_sdwa v32, v7, v57 dst_sel:DWORD dst_unused:UNUSED_PAD src0_sel:WORD_1 src1_sel:DWORD
	v_fma_f16 v46, v46, -0.5, v9
	v_sub_f16_e32 v50, v22, v27
	s_mov_b32 s0, 0xbb9c
	s_movk_i32 s3, 0x3b9c
	v_fma_f16 v32, v7, v52, v32
	v_mul_f16_sdwa v42, v7, v52 dst_sel:DWORD dst_unused:UNUSED_PAD src0_sel:WORD_1 src1_sel:DWORD
	v_fma_f16 v51, v50, s0, v46
	v_sub_f16_e32 v52, v23, v26
	s_mov_b32 s1, 0xb8b4
	v_sub_f16_e32 v54, v58, v34
	v_sub_f16_e32 v55, v39, v38
	v_fma_f16 v46, v50, s3, v46
	s_movk_i32 s4, 0x38b4
	v_fma_f16 v51, v52, s1, v51
	v_add_f16_e32 v54, v54, v55
	s_movk_i32 s2, 0x34f2
	v_fma_f16 v46, v52, s4, v46
	v_fma_f16 v7, v7, v57, -v42
	v_add_f16_e32 v42, v9, v58
	v_fma_f16 v51, v54, s2, v51
	v_fma_f16 v46, v54, s2, v46
	v_add_f16_e32 v54, v58, v39
	v_lshrrev_b32_e32 v33, 16, v9
	v_add_f16_e32 v42, v42, v34
	v_fma_f16 v9, v54, -0.5, v9
	v_add_f16_e32 v42, v42, v38
	v_fma_f16 v54, v52, s3, v9
	v_sub_f16_e32 v55, v34, v58
	v_sub_f16_e32 v56, v38, v39
	v_fma_f16 v9, v52, s0, v9
	v_add_f16_e32 v52, v23, v26
	v_add_f16_e32 v42, v42, v39
	v_fma_f16 v54, v50, s1, v54
	v_add_f16_e32 v55, v55, v56
	v_fma_f16 v9, v50, s4, v9
	v_fma_f16 v52, v52, -0.5, v33
	v_sub_f16_e32 v39, v58, v39
	v_fma_f16 v54, v55, s2, v54
	v_fma_f16 v9, v55, s2, v9
	;; [unrolled: 1-line block ×3, first 2 shown]
	v_sub_f16_e32 v34, v34, v38
	v_fma_f16 v38, v34, s4, v55
	v_sub_f16_e32 v55, v22, v23
	v_sub_f16_e32 v56, v27, v26
	v_fma_f16 v52, v39, s0, v52
	v_add_f16_e32 v50, v33, v22
	v_add_f16_e32 v55, v55, v56
	v_fma_f16 v52, v34, s1, v52
	v_add_f16_e32 v50, v50, v23
	v_fma_f16 v38, v55, s2, v38
	v_fma_f16 v52, v55, s2, v52
	v_add_f16_e32 v55, v22, v27
	v_add_f16_e32 v50, v50, v26
	v_fma_f16 v33, v55, -0.5, v33
	v_add_f16_e32 v50, v50, v27
	v_fma_f16 v55, v34, s0, v33
	v_sub_f16_e32 v22, v23, v22
	v_sub_f16_e32 v23, v26, v27
	v_add_f16_e32 v27, v29, v24
	v_fma_f16 v55, v39, s4, v55
	v_add_f16_e32 v22, v22, v23
	v_fma_f16 v26, v34, s3, v33
	v_fma_f16 v27, v27, -0.5, v10
	v_sub_f16_e32 v33, v0, v3
	v_fma_f16 v23, v22, s2, v55
	v_fma_f16 v26, v39, s1, v26
	;; [unrolled: 1-line block ×3, first 2 shown]
	v_sub_f16_e32 v39, v1, v2
	v_sub_f16_e32 v55, v40, v29
	;; [unrolled: 1-line block ×3, first 2 shown]
	v_fma_f16 v27, v33, s3, v27
	v_fma_f16 v34, v39, s1, v34
	v_add_f16_e32 v55, v55, v56
	v_fma_f16 v27, v39, s4, v27
	v_fma_f16 v22, v22, s2, v26
	v_add_f16_e32 v26, v10, v40
	;; [unrolled: 3-line block ×3, first 2 shown]
	v_lshrrev_b32_e32 v41, 16, v10
	v_add_f16_e32 v26, v26, v29
	v_fma_f16 v10, v55, -0.5, v10
	v_add_f16_e32 v26, v26, v24
	v_fma_f16 v55, v39, s3, v10
	v_fma_f16 v10, v39, s0, v10
	v_add_f16_e32 v39, v1, v2
	v_add_f16_e32 v26, v26, v31
	v_sub_f16_e32 v56, v29, v40
	v_sub_f16_e32 v57, v24, v31
	v_fma_f16 v39, v39, -0.5, v41
	v_sub_f16_e32 v31, v40, v31
	v_fma_f16 v55, v33, s1, v55
	v_add_f16_e32 v56, v56, v57
	v_fma_f16 v10, v33, s4, v10
	v_fma_f16 v40, v31, s3, v39
	v_sub_f16_e32 v24, v29, v24
	v_fma_f16 v55, v56, s2, v55
	v_fma_f16 v10, v56, s2, v10
	;; [unrolled: 1-line block ×3, first 2 shown]
	v_sub_f16_e32 v40, v0, v1
	v_sub_f16_e32 v56, v3, v2
	v_fma_f16 v39, v31, s0, v39
	v_add_f16_e32 v33, v41, v0
	v_add_f16_e32 v40, v40, v56
	v_fma_f16 v39, v24, s1, v39
	v_add_f16_e32 v33, v33, v1
	v_fma_f16 v29, v40, s2, v29
	v_fma_f16 v39, v40, s2, v39
	v_add_f16_e32 v40, v0, v3
	v_add_f16_e32 v33, v33, v2
	v_fma_f16 v40, v40, -0.5, v41
	v_add_f16_e32 v33, v33, v3
	v_fma_f16 v41, v24, s0, v40
	v_sub_f16_e32 v0, v1, v0
	v_sub_f16_e32 v1, v2, v3
	v_add_f16_e32 v3, v30, v25
	v_fma_f16 v41, v31, s4, v41
	v_add_f16_e32 v0, v0, v1
	v_fma_f16 v2, v24, s3, v40
	v_fma_f16 v3, v3, -0.5, v21
	v_sub_f16_e32 v24, v4, v7
	v_fma_f16 v1, v0, s2, v41
	v_fma_f16 v2, v31, s1, v2
	;; [unrolled: 1-line block ×3, first 2 shown]
	v_sub_f16_e32 v40, v5, v6
	v_sub_f16_e32 v41, v28, v30
	;; [unrolled: 1-line block ×3, first 2 shown]
	v_fma_f16 v3, v24, s3, v3
	v_fma_f16 v31, v40, s1, v31
	v_add_f16_e32 v41, v41, v56
	v_fma_f16 v3, v40, s4, v3
	v_fma_f16 v31, v41, s2, v31
	;; [unrolled: 1-line block ×3, first 2 shown]
	v_add_f16_e32 v41, v28, v32
	v_lshrrev_b32_e32 v53, 16, v21
	v_fma_f16 v0, v0, s2, v2
	v_add_f16_e32 v2, v21, v28
	v_fma_f16 v21, v41, -0.5, v21
	v_add_f16_e32 v2, v2, v30
	v_fma_f16 v41, v40, s3, v21
	v_fma_f16 v21, v40, s0, v21
	v_add_f16_e32 v40, v5, v6
	v_add_f16_e32 v2, v2, v25
	v_sub_f16_e32 v56, v30, v28
	v_sub_f16_e32 v57, v25, v32
	v_fma_f16 v40, v40, -0.5, v53
	v_sub_f16_e32 v28, v28, v32
	v_add_f16_e32 v2, v2, v32
	v_fma_f16 v41, v24, s1, v41
	v_add_f16_e32 v56, v56, v57
	v_fma_f16 v21, v24, s4, v21
	v_fma_f16 v32, v28, s3, v40
	v_sub_f16_e32 v25, v30, v25
	v_fma_f16 v41, v56, s2, v41
	v_fma_f16 v21, v56, s2, v21
	;; [unrolled: 1-line block ×3, first 2 shown]
	v_sub_f16_e32 v32, v4, v5
	v_sub_f16_e32 v56, v7, v6
	v_fma_f16 v40, v28, s0, v40
	v_add_f16_e32 v32, v32, v56
	v_fma_f16 v40, v25, s1, v40
	v_add_f16_e32 v24, v53, v4
	v_fma_f16 v30, v32, s2, v30
	v_fma_f16 v32, v32, s2, v40
	v_add_f16_e32 v40, v4, v7
	v_add_f16_e32 v24, v24, v5
	v_fma_f16 v40, v40, -0.5, v53
	v_add_f16_e32 v24, v24, v6
	v_fma_f16 v53, v25, s0, v40
	v_sub_f16_e32 v4, v5, v4
	v_sub_f16_e32 v5, v6, v7
	v_fma_f16 v6, v25, s3, v40
	v_fma_f16 v53, v28, s4, v53
	v_add_f16_e32 v4, v4, v5
	v_fma_f16 v6, v28, s1, v6
	v_add_f16_e32 v24, v24, v7
	v_fma_f16 v5, v4, s2, v53
	v_fma_f16 v4, v4, s2, v6
	v_pack_b32_f16 v6, v42, v50
	v_pack_b32_f16 v7, v51, v38
	s_waitcnt lgkmcnt(0)
	; wave barrier
	ds_write2_b32 v43, v6, v7 offset1:17
	v_pack_b32_f16 v6, v54, v23
	v_pack_b32_f16 v7, v9, v22
	ds_write2_b32 v43, v6, v7 offset0:34 offset1:51
	v_pack_b32_f16 v6, v46, v52
	v_pack_b32_f16 v7, v26, v33
	ds_write2_b32 v43, v6, v7 offset0:68 offset1:85
	;; [unrolled: 3-line block ×6, first 2 shown]
	v_pack_b32_f16 v0, v3, v32
	ds_write_b32 v44, v0 offset:952
	s_waitcnt lgkmcnt(0)
	; wave barrier
	s_waitcnt lgkmcnt(0)
	ds_read2_b32 v[0:1], v43 offset1:17
	ds_read2_b32 v[2:3], v43 offset0:68 offset1:85
	ds_read2_b32 v[4:5], v43 offset0:170 offset1:187
	;; [unrolled: 1-line block ×5, first 2 shown]
	s_waitcnt lgkmcnt(4)
	v_lshrrev_b32_e32 v26, 16, v3
	v_mul_f16_sdwa v44, v11, v26 dst_sel:DWORD dst_unused:UNUSED_PAD src0_sel:WORD_1 src1_sel:DWORD
	s_waitcnt lgkmcnt(3)
	v_lshrrev_b32_e32 v27, 16, v4
	v_fma_f16 v44, v11, v3, v44
	v_mul_f16_sdwa v3, v11, v3 dst_sel:DWORD dst_unused:UNUSED_PAD src0_sel:WORD_1 src1_sel:DWORD
	v_fma_f16 v3, v11, v26, -v3
	v_mul_f16_sdwa v11, v12, v27 dst_sel:DWORD dst_unused:UNUSED_PAD src0_sel:WORD_1 src1_sel:DWORD
	s_waitcnt lgkmcnt(2)
	v_lshrrev_b32_e32 v29, 16, v6
	v_fma_f16 v11, v12, v4, v11
	v_mul_f16_sdwa v4, v12, v4 dst_sel:DWORD dst_unused:UNUSED_PAD src0_sel:WORD_1 src1_sel:DWORD
	v_fma_f16 v4, v12, v27, -v4
	v_mul_f16_sdwa v12, v13, v29 dst_sel:DWORD dst_unused:UNUSED_PAD src0_sel:WORD_1 src1_sel:DWORD
	v_lshrrev_b32_e32 v30, 16, v5
	v_fma_f16 v12, v13, v6, v12
	v_mul_f16_sdwa v6, v13, v6 dst_sel:DWORD dst_unused:UNUSED_PAD src0_sel:WORD_1 src1_sel:DWORD
	v_fma_f16 v6, v13, v29, -v6
	v_mul_f16_sdwa v13, v14, v30 dst_sel:DWORD dst_unused:UNUSED_PAD src0_sel:WORD_1 src1_sel:DWORD
	;; [unrolled: 5-line block ×3, first 2 shown]
	s_waitcnt lgkmcnt(1)
	v_lshrrev_b32_e32 v33, 16, v21
	v_fma_f16 v14, v15, v7, v14
	v_mul_f16_sdwa v7, v15, v7 dst_sel:DWORD dst_unused:UNUSED_PAD src0_sel:WORD_1 src1_sel:DWORD
	v_fma_f16 v7, v15, v32, -v7
	v_mul_f16_sdwa v15, v16, v33 dst_sel:DWORD dst_unused:UNUSED_PAD src0_sel:WORD_1 src1_sel:DWORD
	s_waitcnt lgkmcnt(0)
	v_lshrrev_b32_e32 v39, 16, v23
	v_fma_f16 v15, v16, v21, v15
	v_mul_f16_sdwa v21, v16, v21 dst_sel:DWORD dst_unused:UNUSED_PAD src0_sel:WORD_1 src1_sel:DWORD
	ds_read_b32 v38, v43 offset:952
	v_fma_f16 v16, v16, v33, -v21
	v_mul_f16_sdwa v21, v17, v39 dst_sel:DWORD dst_unused:UNUSED_PAD src0_sel:WORD_1 src1_sel:DWORD
	v_lshrrev_b32_e32 v40, 16, v22
	v_fma_f16 v21, v17, v23, v21
	v_mul_f16_sdwa v23, v17, v23 dst_sel:DWORD dst_unused:UNUSED_PAD src0_sel:WORD_1 src1_sel:DWORD
	v_fma_f16 v17, v17, v39, -v23
	v_mul_f16_sdwa v23, v18, v40 dst_sel:DWORD dst_unused:UNUSED_PAD src0_sel:WORD_1 src1_sel:DWORD
	v_lshrrev_b32_e32 v42, 16, v24
	v_fma_f16 v23, v18, v22, v23
	v_mul_f16_sdwa v22, v18, v22 dst_sel:DWORD dst_unused:UNUSED_PAD src0_sel:WORD_1 src1_sel:DWORD
	v_fma_f16 v18, v18, v40, -v22
	v_mul_f16_sdwa v22, v19, v42 dst_sel:DWORD dst_unused:UNUSED_PAD src0_sel:WORD_1 src1_sel:DWORD
	ds_read2_b32 v[9:10], v43 offset0:34 offset1:51
	s_waitcnt lgkmcnt(1)
	v_lshrrev_b32_e32 v43, 16, v38
	v_fma_f16 v22, v19, v24, v22
	v_mul_f16_sdwa v24, v19, v24 dst_sel:DWORD dst_unused:UNUSED_PAD src0_sel:WORD_1 src1_sel:DWORD
	v_fma_f16 v19, v19, v42, -v24
	v_mul_f16_sdwa v24, v20, v43 dst_sel:DWORD dst_unused:UNUSED_PAD src0_sel:WORD_1 src1_sel:DWORD
	v_mul_f16_sdwa v26, v20, v38 dst_sel:DWORD dst_unused:UNUSED_PAD src0_sel:WORD_1 src1_sel:DWORD
	v_add_f16_e32 v27, v44, v11
	v_lshrrev_b32_e32 v25, 16, v0
	v_fma_f16 v24, v20, v38, v24
	v_fma_f16 v20, v20, v43, -v26
	v_add_f16_e32 v26, v0, v44
	v_fma_f16 v0, v27, -0.5, v0
	v_sub_f16_e32 v27, v3, v4
	s_mov_b32 s0, 0xbaee
	s_movk_i32 s1, 0x3aee
	v_fma_f16 v29, v27, s0, v0
	v_fma_f16 v0, v27, s1, v0
	v_add_f16_e32 v27, v25, v3
	v_add_f16_e32 v3, v3, v4
	v_add_f16_e32 v27, v27, v4
	v_fma_f16 v3, v3, -0.5, v25
	v_sub_f16_e32 v4, v44, v11
	v_add_f16_e32 v25, v12, v13
	v_lshrrev_b32_e32 v28, 16, v1
	v_add_f16_e32 v26, v26, v11
	v_fma_f16 v11, v4, s1, v3
	v_fma_f16 v3, v4, s0, v3
	v_add_f16_e32 v4, v1, v12
	v_fma_f16 v1, v25, -0.5, v1
	v_sub_f16_e32 v25, v6, v5
	v_fma_f16 v30, v25, s0, v1
	v_fma_f16 v1, v25, s1, v1
	v_add_f16_e32 v25, v28, v6
	v_add_f16_e32 v25, v25, v5
	;; [unrolled: 1-line block ×4, first 2 shown]
	v_fma_f16 v5, v5, -0.5, v28
	v_sub_f16_e32 v6, v12, v13
	v_add_f16_e32 v13, v14, v15
	s_waitcnt lgkmcnt(0)
	v_lshrrev_b32_e32 v31, 16, v9
	v_fma_f16 v12, v6, s1, v5
	v_fma_f16 v5, v6, s0, v5
	v_add_f16_e32 v6, v9, v14
	v_fma_f16 v9, v13, -0.5, v9
	v_sub_f16_e32 v13, v7, v16
	v_fma_f16 v28, v13, s0, v9
	v_fma_f16 v9, v13, s1, v9
	v_add_f16_e32 v13, v31, v7
	v_add_f16_e32 v7, v7, v16
	;; [unrolled: 1-line block ×3, first 2 shown]
	v_fma_f16 v7, v7, -0.5, v31
	v_sub_f16_e32 v14, v14, v15
	v_add_f16_e32 v16, v21, v23
	v_lshrrev_b32_e32 v34, 16, v10
	v_add_f16_e32 v6, v6, v15
	v_fma_f16 v15, v14, s1, v7
	v_fma_f16 v7, v14, s0, v7
	v_add_f16_e32 v14, v10, v21
	v_fma_f16 v10, v16, -0.5, v10
	v_sub_f16_e32 v16, v17, v18
	v_fma_f16 v31, v16, s0, v10
	v_fma_f16 v10, v16, s1, v10
	v_add_f16_e32 v16, v34, v17
	v_add_f16_e32 v17, v17, v18
	;; [unrolled: 1-line block ×4, first 2 shown]
	v_fma_f16 v17, v17, -0.5, v34
	v_sub_f16_e32 v18, v21, v23
	v_add_f16_e32 v23, v22, v24
	v_lshrrev_b32_e32 v41, 16, v2
	v_fma_f16 v21, v18, s1, v17
	v_fma_f16 v17, v18, s0, v17
	v_add_f16_e32 v18, v2, v22
	v_fma_f16 v2, v23, -0.5, v2
	v_sub_f16_e32 v23, v19, v20
	v_fma_f16 v32, v23, s0, v2
	v_fma_f16 v2, v23, s1, v2
	v_add_f16_e32 v23, v41, v19
	v_add_f16_e32 v19, v19, v20
	;; [unrolled: 1-line block ×3, first 2 shown]
	v_fma_f16 v19, v19, -0.5, v41
	v_sub_f16_e32 v20, v22, v24
	v_pack_b32_f16 v0, v0, v3
	v_pack_b32_f16 v1, v1, v5
	v_fma_f16 v22, v20, s1, v19
	v_fma_f16 v19, v20, s0, v19
	v_pack_b32_f16 v20, v26, v27
	v_pack_b32_f16 v3, v4, v25
	ds_write2_b32 v45, v0, v1 offset0:170 offset1:187
	v_pack_b32_f16 v0, v6, v13
	v_pack_b32_f16 v11, v29, v11
	ds_write2_b32 v45, v20, v3 offset1:17
	v_pack_b32_f16 v3, v30, v12
	ds_write_b32 v45, v0 offset:136
	v_pack_b32_f16 v0, v28, v15
	v_pack_b32_f16 v1, v9, v7
	ds_write2_b32 v45, v11, v3 offset0:85 offset1:102
	ds_write2_b32 v49, v0, v1 offset0:85 offset1:170
	v_pack_b32_f16 v0, v14, v16
	v_add_f16_e32 v18, v18, v24
	ds_write_b32 v45, v0 offset:204
	v_pack_b32_f16 v0, v31, v21
	v_pack_b32_f16 v1, v10, v17
	ds_write2_b32 v48, v0, v1 offset0:85 offset1:170
	v_pack_b32_f16 v0, v18, v23
	ds_write_b32 v45, v0 offset:272
	v_pack_b32_f16 v0, v32, v22
	v_pack_b32_f16 v1, v2, v19
	ds_write2_b32 v47, v0, v1 offset0:85 offset1:170
	s_waitcnt lgkmcnt(0)
	; wave barrier
	s_waitcnt lgkmcnt(0)
	s_and_b64 exec, exec, vcc
	s_cbranch_execz .LBB0_15
; %bb.14:
	global_load_dword v9, v36, s[6:7]
	v_mad_u64_u32 v[1:2], s[0:1], s10, v8, 0
	v_mad_u64_u32 v[3:4], s[0:1], s8, v35, 0
	ds_read_b32 v10, v45
	s_mov_b32 s14, 0x10101010
	v_mad_u64_u32 v[5:6], s[0:1], s11, v8, v[2:3]
	s_mov_b32 s15, 0x3f701010
	v_mov_b32_e32 v11, s13
	v_mad_u64_u32 v[6:7], s[0:1], s9, v35, v[4:5]
	s_waitcnt lgkmcnt(0)
	v_lshrrev_b32_e32 v7, 16, v10
	v_mov_b32_e32 v2, v5
	v_mov_b32_e32 v4, v6
	v_lshlrev_b64 v[1:2], 2, v[1:2]
	v_lshlrev_b64 v[3:4], 2, v[3:4]
	v_add_co_u32_e32 v1, vcc, s12, v1
	v_addc_co_u32_e32 v2, vcc, v11, v2, vcc
	s_movk_i32 s16, 0x1ff
	s_movk_i32 s10, 0xffe
	v_mov_b32_e32 v0, 0x7c00
	s_movk_i32 s18, 0x40f
	s_mov_b32 s17, 0x8000
	s_mul_hi_u32 s12, s8, 60
	s_mul_i32 s11, s8, 60
	s_waitcnt vmcnt(0)
	v_mul_f16_sdwa v5, v7, v9 dst_sel:DWORD dst_unused:UNUSED_PAD src0_sel:DWORD src1_sel:WORD_1
	v_fma_f16 v5, v10, v9, v5
	v_mul_f16_sdwa v6, v10, v9 dst_sel:DWORD dst_unused:UNUSED_PAD src0_sel:DWORD src1_sel:WORD_1
	v_cvt_f32_f16_e32 v5, v5
	v_fma_f16 v6, v9, v7, -v6
	v_cvt_f32_f16_e32 v7, v6
	v_add_co_u32_e32 v9, vcc, v1, v3
	v_cvt_f64_f32_e32 v[5:6], v5
	v_cvt_f64_f32_e32 v[7:8], v7
	v_addc_co_u32_e32 v10, vcc, v2, v4, vcc
	v_mul_f64 v[5:6], v[5:6], s[14:15]
	v_mul_f64 v[7:8], v[7:8], s[14:15]
	v_and_or_b32 v3, v6, s16, v5
	v_and_or_b32 v7, v8, s16, v7
	v_cmp_ne_u32_e32 vcc, 0, v3
	v_lshrrev_b32_e32 v4, 8, v6
	v_bfe_u32 v5, v6, 20, 11
	v_cndmask_b32_e64 v3, 0, 1, vcc
	v_cmp_ne_u32_e32 vcc, 0, v7
	v_lshrrev_b32_e32 v11, 8, v8
	v_bfe_u32 v12, v8, 20, 11
	v_sub_u32_e32 v13, 0x3f1, v5
	v_cndmask_b32_e64 v7, 0, 1, vcc
	v_and_or_b32 v3, v4, s10, v3
	v_sub_u32_e32 v14, 0x3f1, v12
	v_med3_i32 v4, v13, 0, 13
	v_and_or_b32 v7, v11, s10, v7
	v_or_b32_e32 v13, 0x1000, v3
	v_add_u32_e32 v5, 0xfffffc10, v5
	v_med3_i32 v11, v14, 0, 13
	v_cmp_ne_u32_e32 vcc, 0, v3
	v_or_b32_e32 v15, 0x1000, v7
	v_lshrrev_b32_e32 v17, v4, v13
	v_add_u32_e32 v12, 0xfffffc10, v12
	v_lshl_or_b32 v14, v5, 12, v3
	v_cndmask_b32_e64 v3, 0, 1, vcc
	v_cmp_ne_u32_e32 vcc, 0, v7
	v_lshrrev_b32_e32 v18, v11, v15
	v_lshlrev_b32_e32 v4, v4, v17
	v_lshl_or_b32 v16, v12, 12, v7
	v_cndmask_b32_e64 v7, 0, 1, vcc
	v_lshlrev_b32_e32 v11, v11, v18
	v_cmp_ne_u32_e32 vcc, v4, v13
	v_cndmask_b32_e64 v4, 0, 1, vcc
	v_cmp_ne_u32_e32 vcc, v11, v15
	v_cndmask_b32_e64 v11, 0, 1, vcc
	v_or_b32_e32 v4, v17, v4
	v_cmp_gt_i32_e32 vcc, 1, v5
	v_cndmask_b32_e32 v4, v14, v4, vcc
	v_or_b32_e32 v11, v18, v11
	v_cmp_gt_i32_e32 vcc, 1, v12
	v_and_b32_e32 v13, 7, v4
	v_cndmask_b32_e32 v11, v16, v11, vcc
	v_cmp_lt_i32_e32 vcc, 5, v13
	v_cmp_eq_u32_e64 s[0:1], 3, v13
	v_lshrrev_b32_e32 v4, 2, v4
	v_and_b32_e32 v14, 7, v11
	s_or_b64 vcc, s[0:1], vcc
	v_cmp_lt_i32_e64 s[2:3], 5, v14
	v_cmp_eq_u32_e64 s[4:5], 3, v14
	v_addc_co_u32_e32 v4, vcc, 0, v4, vcc
	v_lshrrev_b32_e32 v11, 2, v11
	s_or_b64 vcc, s[4:5], s[2:3]
	v_addc_co_u32_e32 v11, vcc, 0, v11, vcc
	v_cmp_gt_i32_e32 vcc, 31, v5
	v_cndmask_b32_e32 v4, v0, v4, vcc
	v_cmp_gt_i32_e32 vcc, 31, v12
	v_lshl_or_b32 v3, v3, 9, v0
	v_cndmask_b32_e32 v11, v0, v11, vcc
	v_cmp_eq_u32_e32 vcc, s18, v5
	v_lshrrev_b32_e32 v6, 16, v6
	v_lshl_or_b32 v7, v7, 9, v0
	v_cndmask_b32_e32 v3, v4, v3, vcc
	v_cmp_eq_u32_e32 vcc, s18, v12
	v_lshrrev_b32_e32 v8, 16, v8
	v_cndmask_b32_e32 v4, v11, v7, vcc
	v_and_or_b32 v3, v6, s17, v3
	v_and_or_b32 v4, v8, s17, v4
	v_and_b32_e32 v3, 0xffff, v3
	v_lshl_or_b32 v3, v4, 16, v3
	global_store_dword v[9:10], v3, off
	global_load_dword v6, v36, s[6:7] offset:60
	v_lshl_add_u32 v3, v37, 2, v36
	ds_read2_b32 v[4:5], v3 offset0:15 offset1:30
	s_mul_i32 s0, s9, 60
	s_add_i32 s12, s12, s0
	s_waitcnt lgkmcnt(0)
	v_lshrrev_b32_e32 v7, 16, v4
	s_waitcnt vmcnt(0)
	v_mul_f16_sdwa v8, v7, v6 dst_sel:DWORD dst_unused:UNUSED_PAD src0_sel:DWORD src1_sel:WORD_1
	v_fma_f16 v8, v4, v6, v8
	v_mul_f16_sdwa v4, v4, v6 dst_sel:DWORD dst_unused:UNUSED_PAD src0_sel:DWORD src1_sel:WORD_1
	v_cvt_f32_f16_e32 v8, v8
	v_fma_f16 v4, v6, v7, -v4
	v_cvt_f32_f16_e32 v4, v4
	v_cvt_f64_f32_e32 v[6:7], v8
	v_add_co_u32_e32 v8, vcc, s11, v9
	v_cvt_f64_f32_e32 v[11:12], v4
	v_mul_f64 v[6:7], v[6:7], s[14:15]
	v_mov_b32_e32 v4, s12
	v_addc_co_u32_e32 v9, vcc, v10, v4, vcc
	v_mul_f64 v[11:12], v[11:12], s[14:15]
	v_and_or_b32 v4, v7, s16, v6
	v_cmp_ne_u32_e32 vcc, 0, v4
	v_lshrrev_b32_e32 v6, 8, v7
	v_bfe_u32 v10, v7, 20, 11
	v_and_or_b32 v11, v12, s16, v11
	v_cndmask_b32_e64 v4, 0, 1, vcc
	v_cmp_ne_u32_e32 vcc, 0, v11
	v_lshrrev_b32_e32 v13, 8, v12
	v_bfe_u32 v14, v12, 20, 11
	v_sub_u32_e32 v15, 0x3f1, v10
	v_cndmask_b32_e64 v11, 0, 1, vcc
	v_and_or_b32 v4, v6, s10, v4
	v_sub_u32_e32 v16, 0x3f1, v14
	v_med3_i32 v6, v15, 0, 13
	v_and_or_b32 v11, v13, s10, v11
	v_or_b32_e32 v15, 0x1000, v4
	v_add_u32_e32 v10, 0xfffffc10, v10
	v_med3_i32 v13, v16, 0, 13
	v_cmp_ne_u32_e32 vcc, 0, v4
	v_or_b32_e32 v17, 0x1000, v11
	v_lshrrev_b32_e32 v19, v6, v15
	v_add_u32_e32 v14, 0xfffffc10, v14
	v_lshl_or_b32 v16, v10, 12, v4
	v_cndmask_b32_e64 v4, 0, 1, vcc
	v_cmp_ne_u32_e32 vcc, 0, v11
	v_lshrrev_b32_e32 v20, v13, v17
	v_lshlrev_b32_e32 v6, v6, v19
	v_lshl_or_b32 v18, v14, 12, v11
	v_cndmask_b32_e64 v11, 0, 1, vcc
	v_lshlrev_b32_e32 v13, v13, v20
	v_cmp_ne_u32_e32 vcc, v6, v15
	v_cndmask_b32_e64 v6, 0, 1, vcc
	v_cmp_ne_u32_e32 vcc, v13, v17
	v_cndmask_b32_e64 v13, 0, 1, vcc
	v_or_b32_e32 v6, v19, v6
	v_cmp_gt_i32_e32 vcc, 1, v10
	v_cndmask_b32_e32 v6, v16, v6, vcc
	v_or_b32_e32 v13, v20, v13
	v_cmp_gt_i32_e32 vcc, 1, v14
	v_and_b32_e32 v15, 7, v6
	v_cndmask_b32_e32 v13, v18, v13, vcc
	v_cmp_lt_i32_e32 vcc, 5, v15
	v_cmp_eq_u32_e64 s[0:1], 3, v15
	v_lshrrev_b32_e32 v6, 2, v6
	v_and_b32_e32 v16, 7, v13
	s_or_b64 vcc, s[0:1], vcc
	v_cmp_lt_i32_e64 s[2:3], 5, v16
	v_cmp_eq_u32_e64 s[4:5], 3, v16
	v_addc_co_u32_e32 v6, vcc, 0, v6, vcc
	v_lshrrev_b32_e32 v13, 2, v13
	s_or_b64 vcc, s[4:5], s[2:3]
	v_addc_co_u32_e32 v13, vcc, 0, v13, vcc
	v_cmp_gt_i32_e32 vcc, 31, v10
	v_cndmask_b32_e32 v6, v0, v6, vcc
	v_cmp_gt_i32_e32 vcc, 31, v14
	v_lshl_or_b32 v4, v4, 9, v0
	v_cndmask_b32_e32 v13, v0, v13, vcc
	v_cmp_eq_u32_e32 vcc, s18, v10
	v_lshrrev_b32_e32 v7, 16, v7
	v_lshl_or_b32 v11, v11, 9, v0
	v_cndmask_b32_e32 v4, v6, v4, vcc
	v_cmp_eq_u32_e32 vcc, s18, v14
	v_lshrrev_b32_e32 v12, 16, v12
	v_cndmask_b32_e32 v6, v13, v11, vcc
	v_and_or_b32 v4, v7, s17, v4
	v_and_or_b32 v6, v12, s17, v6
	v_and_b32_e32 v4, 0xffff, v4
	v_lshl_or_b32 v4, v6, 16, v4
	global_store_dword v[8:9], v4, off
	global_load_dword v4, v36, s[6:7] offset:120
	v_lshrrev_b32_e32 v6, 16, v5
	v_mov_b32_e32 v10, s12
	v_add_co_u32_e32 v8, vcc, s11, v8
	v_addc_co_u32_e32 v9, vcc, v9, v10, vcc
	s_waitcnt vmcnt(0)
	v_mul_f16_sdwa v7, v6, v4 dst_sel:DWORD dst_unused:UNUSED_PAD src0_sel:DWORD src1_sel:WORD_1
	v_fma_f16 v7, v5, v4, v7
	v_mul_f16_sdwa v5, v5, v4 dst_sel:DWORD dst_unused:UNUSED_PAD src0_sel:DWORD src1_sel:WORD_1
	v_cvt_f32_f16_e32 v7, v7
	v_fma_f16 v4, v4, v6, -v5
	v_cvt_f32_f16_e32 v6, v4
	v_cvt_f64_f32_e32 v[4:5], v7
	v_cvt_f64_f32_e32 v[6:7], v6
	v_mul_f64 v[4:5], v[4:5], s[14:15]
	v_mul_f64 v[6:7], v[6:7], s[14:15]
	v_and_or_b32 v4, v5, s16, v4
	v_cmp_ne_u32_e32 vcc, 0, v4
	v_and_or_b32 v6, v7, s16, v6
	v_lshrrev_b32_e32 v10, 8, v5
	v_bfe_u32 v11, v5, 20, 11
	v_cndmask_b32_e64 v4, 0, 1, vcc
	v_cmp_ne_u32_e32 vcc, 0, v6
	v_lshrrev_b32_e32 v12, 8, v7
	v_bfe_u32 v13, v7, 20, 11
	v_sub_u32_e32 v14, 0x3f1, v11
	v_cndmask_b32_e64 v6, 0, 1, vcc
	v_and_or_b32 v4, v10, s10, v4
	v_sub_u32_e32 v15, 0x3f1, v13
	v_med3_i32 v10, v14, 0, 13
	v_and_or_b32 v6, v12, s10, v6
	v_or_b32_e32 v14, 0x1000, v4
	v_add_u32_e32 v11, 0xfffffc10, v11
	v_med3_i32 v12, v15, 0, 13
	v_cmp_ne_u32_e32 vcc, 0, v4
	v_or_b32_e32 v16, 0x1000, v6
	v_lshrrev_b32_e32 v18, v10, v14
	v_add_u32_e32 v13, 0xfffffc10, v13
	v_lshl_or_b32 v15, v11, 12, v4
	v_cndmask_b32_e64 v4, 0, 1, vcc
	v_cmp_ne_u32_e32 vcc, 0, v6
	v_lshrrev_b32_e32 v19, v12, v16
	v_lshlrev_b32_e32 v10, v10, v18
	v_lshl_or_b32 v17, v13, 12, v6
	v_cndmask_b32_e64 v6, 0, 1, vcc
	v_lshlrev_b32_e32 v12, v12, v19
	v_cmp_ne_u32_e32 vcc, v10, v14
	v_cndmask_b32_e64 v10, 0, 1, vcc
	v_cmp_ne_u32_e32 vcc, v12, v16
	v_cndmask_b32_e64 v12, 0, 1, vcc
	v_or_b32_e32 v10, v18, v10
	v_cmp_gt_i32_e32 vcc, 1, v11
	v_cndmask_b32_e32 v10, v15, v10, vcc
	v_or_b32_e32 v12, v19, v12
	v_cmp_gt_i32_e32 vcc, 1, v13
	v_and_b32_e32 v14, 7, v10
	v_cndmask_b32_e32 v12, v17, v12, vcc
	v_cmp_lt_i32_e32 vcc, 5, v14
	v_cmp_eq_u32_e64 s[0:1], 3, v14
	v_lshrrev_b32_e32 v10, 2, v10
	v_and_b32_e32 v15, 7, v12
	s_or_b64 vcc, s[0:1], vcc
	v_cmp_lt_i32_e64 s[2:3], 5, v15
	v_cmp_eq_u32_e64 s[4:5], 3, v15
	v_addc_co_u32_e32 v10, vcc, 0, v10, vcc
	v_lshrrev_b32_e32 v12, 2, v12
	s_or_b64 vcc, s[4:5], s[2:3]
	v_addc_co_u32_e32 v12, vcc, 0, v12, vcc
	v_cmp_gt_i32_e32 vcc, 31, v11
	v_cndmask_b32_e32 v10, v0, v10, vcc
	v_cmp_gt_i32_e32 vcc, 31, v13
	v_lshl_or_b32 v4, v4, 9, v0
	v_cndmask_b32_e32 v12, v0, v12, vcc
	v_cmp_eq_u32_e32 vcc, s18, v11
	v_lshrrev_b32_e32 v5, 16, v5
	v_lshl_or_b32 v6, v6, 9, v0
	v_cndmask_b32_e32 v4, v10, v4, vcc
	v_cmp_eq_u32_e32 vcc, s18, v13
	v_lshrrev_b32_e32 v7, 16, v7
	v_cndmask_b32_e32 v6, v12, v6, vcc
	v_and_or_b32 v4, v5, s17, v4
	v_and_or_b32 v5, v7, s17, v6
	v_and_b32_e32 v4, 0xffff, v4
	v_lshl_or_b32 v4, v5, 16, v4
	global_store_dword v[8:9], v4, off
	global_load_dword v6, v36, s[6:7] offset:180
	ds_read2_b32 v[4:5], v3 offset0:45 offset1:60
	v_add_co_u32_e32 v8, vcc, s11, v8
	s_waitcnt lgkmcnt(0)
	v_lshrrev_b32_e32 v7, 16, v4
	s_waitcnt vmcnt(0)
	v_mul_f16_sdwa v10, v7, v6 dst_sel:DWORD dst_unused:UNUSED_PAD src0_sel:DWORD src1_sel:WORD_1
	v_fma_f16 v10, v4, v6, v10
	v_mul_f16_sdwa v4, v4, v6 dst_sel:DWORD dst_unused:UNUSED_PAD src0_sel:DWORD src1_sel:WORD_1
	v_cvt_f32_f16_e32 v10, v10
	v_fma_f16 v4, v6, v7, -v4
	v_cvt_f32_f16_e32 v4, v4
	v_cvt_f64_f32_e32 v[6:7], v10
	v_cvt_f64_f32_e32 v[10:11], v4
	v_mov_b32_e32 v4, s12
	v_mul_f64 v[6:7], v[6:7], s[14:15]
	v_addc_co_u32_e32 v9, vcc, v9, v4, vcc
	v_mul_f64 v[10:11], v[10:11], s[14:15]
	v_and_or_b32 v4, v7, s16, v6
	v_cmp_ne_u32_e32 vcc, 0, v4
	v_lshrrev_b32_e32 v6, 8, v7
	v_and_or_b32 v10, v11, s16, v10
	v_bfe_u32 v12, v7, 20, 11
	v_cndmask_b32_e64 v4, 0, 1, vcc
	v_cmp_ne_u32_e32 vcc, 0, v10
	v_lshrrev_b32_e32 v13, 8, v11
	v_bfe_u32 v14, v11, 20, 11
	v_sub_u32_e32 v15, 0x3f1, v12
	v_cndmask_b32_e64 v10, 0, 1, vcc
	v_and_or_b32 v4, v6, s10, v4
	v_sub_u32_e32 v16, 0x3f1, v14
	v_med3_i32 v6, v15, 0, 13
	v_and_or_b32 v10, v13, s10, v10
	v_or_b32_e32 v15, 0x1000, v4
	v_add_u32_e32 v12, 0xfffffc10, v12
	v_med3_i32 v13, v16, 0, 13
	v_cmp_ne_u32_e32 vcc, 0, v4
	v_or_b32_e32 v17, 0x1000, v10
	v_lshrrev_b32_e32 v19, v6, v15
	v_add_u32_e32 v14, 0xfffffc10, v14
	v_lshl_or_b32 v16, v12, 12, v4
	v_cndmask_b32_e64 v4, 0, 1, vcc
	v_cmp_ne_u32_e32 vcc, 0, v10
	v_lshrrev_b32_e32 v20, v13, v17
	v_lshlrev_b32_e32 v6, v6, v19
	v_lshl_or_b32 v18, v14, 12, v10
	v_cndmask_b32_e64 v10, 0, 1, vcc
	v_lshlrev_b32_e32 v13, v13, v20
	v_cmp_ne_u32_e32 vcc, v6, v15
	v_cndmask_b32_e64 v6, 0, 1, vcc
	v_cmp_ne_u32_e32 vcc, v13, v17
	v_cndmask_b32_e64 v13, 0, 1, vcc
	v_or_b32_e32 v6, v19, v6
	v_cmp_gt_i32_e32 vcc, 1, v12
	v_cndmask_b32_e32 v6, v16, v6, vcc
	v_or_b32_e32 v13, v20, v13
	v_cmp_gt_i32_e32 vcc, 1, v14
	v_and_b32_e32 v15, 7, v6
	v_cndmask_b32_e32 v13, v18, v13, vcc
	v_cmp_lt_i32_e32 vcc, 5, v15
	v_cmp_eq_u32_e64 s[0:1], 3, v15
	v_lshrrev_b32_e32 v6, 2, v6
	v_and_b32_e32 v16, 7, v13
	s_or_b64 vcc, s[0:1], vcc
	v_cmp_lt_i32_e64 s[2:3], 5, v16
	v_cmp_eq_u32_e64 s[4:5], 3, v16
	v_addc_co_u32_e32 v6, vcc, 0, v6, vcc
	v_lshrrev_b32_e32 v13, 2, v13
	s_or_b64 vcc, s[4:5], s[2:3]
	v_addc_co_u32_e32 v13, vcc, 0, v13, vcc
	v_cmp_gt_i32_e32 vcc, 31, v12
	v_cndmask_b32_e32 v6, v0, v6, vcc
	v_cmp_gt_i32_e32 vcc, 31, v14
	v_lshl_or_b32 v4, v4, 9, v0
	v_cndmask_b32_e32 v13, v0, v13, vcc
	v_cmp_eq_u32_e32 vcc, s18, v12
	v_lshrrev_b32_e32 v7, 16, v7
	v_lshl_or_b32 v10, v10, 9, v0
	v_cndmask_b32_e32 v4, v6, v4, vcc
	v_cmp_eq_u32_e32 vcc, s18, v14
	v_lshrrev_b32_e32 v11, 16, v11
	v_cndmask_b32_e32 v6, v13, v10, vcc
	v_and_or_b32 v4, v7, s17, v4
	v_and_or_b32 v6, v11, s17, v6
	v_and_b32_e32 v4, 0xffff, v4
	v_lshl_or_b32 v4, v6, 16, v4
	global_store_dword v[8:9], v4, off
	global_load_dword v4, v36, s[6:7] offset:240
	v_lshrrev_b32_e32 v6, 16, v5
	v_mov_b32_e32 v10, s12
	v_add_co_u32_e32 v8, vcc, s11, v8
	v_addc_co_u32_e32 v9, vcc, v9, v10, vcc
	s_waitcnt vmcnt(0)
	v_mul_f16_sdwa v7, v6, v4 dst_sel:DWORD dst_unused:UNUSED_PAD src0_sel:DWORD src1_sel:WORD_1
	v_fma_f16 v7, v5, v4, v7
	v_mul_f16_sdwa v5, v5, v4 dst_sel:DWORD dst_unused:UNUSED_PAD src0_sel:DWORD src1_sel:WORD_1
	v_cvt_f32_f16_e32 v7, v7
	v_fma_f16 v4, v4, v6, -v5
	v_cvt_f32_f16_e32 v6, v4
	v_cvt_f64_f32_e32 v[4:5], v7
	v_cvt_f64_f32_e32 v[6:7], v6
	v_mul_f64 v[4:5], v[4:5], s[14:15]
	v_mul_f64 v[6:7], v[6:7], s[14:15]
	v_and_or_b32 v4, v5, s16, v4
	v_cmp_ne_u32_e32 vcc, 0, v4
	v_and_or_b32 v6, v7, s16, v6
	v_lshrrev_b32_e32 v10, 8, v5
	v_bfe_u32 v11, v5, 20, 11
	v_cndmask_b32_e64 v4, 0, 1, vcc
	v_cmp_ne_u32_e32 vcc, 0, v6
	v_lshrrev_b32_e32 v12, 8, v7
	v_bfe_u32 v13, v7, 20, 11
	v_sub_u32_e32 v14, 0x3f1, v11
	v_cndmask_b32_e64 v6, 0, 1, vcc
	v_and_or_b32 v4, v10, s10, v4
	v_sub_u32_e32 v15, 0x3f1, v13
	v_med3_i32 v10, v14, 0, 13
	v_and_or_b32 v6, v12, s10, v6
	v_or_b32_e32 v14, 0x1000, v4
	v_add_u32_e32 v11, 0xfffffc10, v11
	v_med3_i32 v12, v15, 0, 13
	v_cmp_ne_u32_e32 vcc, 0, v4
	v_or_b32_e32 v16, 0x1000, v6
	v_lshrrev_b32_e32 v18, v10, v14
	v_add_u32_e32 v13, 0xfffffc10, v13
	v_lshl_or_b32 v15, v11, 12, v4
	v_cndmask_b32_e64 v4, 0, 1, vcc
	v_cmp_ne_u32_e32 vcc, 0, v6
	v_lshrrev_b32_e32 v19, v12, v16
	v_lshlrev_b32_e32 v10, v10, v18
	v_lshl_or_b32 v17, v13, 12, v6
	v_cndmask_b32_e64 v6, 0, 1, vcc
	v_lshlrev_b32_e32 v12, v12, v19
	v_cmp_ne_u32_e32 vcc, v10, v14
	v_cndmask_b32_e64 v10, 0, 1, vcc
	v_cmp_ne_u32_e32 vcc, v12, v16
	v_cndmask_b32_e64 v12, 0, 1, vcc
	v_or_b32_e32 v10, v18, v10
	v_cmp_gt_i32_e32 vcc, 1, v11
	v_cndmask_b32_e32 v10, v15, v10, vcc
	v_or_b32_e32 v12, v19, v12
	v_cmp_gt_i32_e32 vcc, 1, v13
	v_and_b32_e32 v14, 7, v10
	v_cndmask_b32_e32 v12, v17, v12, vcc
	v_cmp_lt_i32_e32 vcc, 5, v14
	v_cmp_eq_u32_e64 s[0:1], 3, v14
	v_lshrrev_b32_e32 v10, 2, v10
	v_and_b32_e32 v15, 7, v12
	s_or_b64 vcc, s[0:1], vcc
	v_cmp_lt_i32_e64 s[2:3], 5, v15
	v_cmp_eq_u32_e64 s[4:5], 3, v15
	v_addc_co_u32_e32 v10, vcc, 0, v10, vcc
	v_lshrrev_b32_e32 v12, 2, v12
	s_or_b64 vcc, s[4:5], s[2:3]
	v_addc_co_u32_e32 v12, vcc, 0, v12, vcc
	v_cmp_gt_i32_e32 vcc, 31, v11
	v_cndmask_b32_e32 v10, v0, v10, vcc
	v_cmp_gt_i32_e32 vcc, 31, v13
	v_lshl_or_b32 v4, v4, 9, v0
	v_cndmask_b32_e32 v12, v0, v12, vcc
	v_cmp_eq_u32_e32 vcc, s18, v11
	v_lshrrev_b32_e32 v5, 16, v5
	v_lshl_or_b32 v6, v6, 9, v0
	v_cndmask_b32_e32 v4, v10, v4, vcc
	v_cmp_eq_u32_e32 vcc, s18, v13
	v_lshrrev_b32_e32 v7, 16, v7
	v_cndmask_b32_e32 v6, v12, v6, vcc
	v_and_or_b32 v4, v5, s17, v4
	v_and_or_b32 v5, v7, s17, v6
	v_and_b32_e32 v4, 0xffff, v4
	v_lshl_or_b32 v4, v5, 16, v4
	global_store_dword v[8:9], v4, off
	global_load_dword v6, v36, s[6:7] offset:300
	ds_read2_b32 v[4:5], v3 offset0:75 offset1:90
	v_add_co_u32_e32 v8, vcc, s11, v8
	s_waitcnt lgkmcnt(0)
	v_lshrrev_b32_e32 v7, 16, v4
	s_waitcnt vmcnt(0)
	v_mul_f16_sdwa v10, v7, v6 dst_sel:DWORD dst_unused:UNUSED_PAD src0_sel:DWORD src1_sel:WORD_1
	v_fma_f16 v10, v4, v6, v10
	v_mul_f16_sdwa v4, v4, v6 dst_sel:DWORD dst_unused:UNUSED_PAD src0_sel:DWORD src1_sel:WORD_1
	v_cvt_f32_f16_e32 v10, v10
	v_fma_f16 v4, v6, v7, -v4
	v_cvt_f32_f16_e32 v4, v4
	v_cvt_f64_f32_e32 v[6:7], v10
	v_cvt_f64_f32_e32 v[10:11], v4
	v_mov_b32_e32 v4, s12
	v_mul_f64 v[6:7], v[6:7], s[14:15]
	v_addc_co_u32_e32 v9, vcc, v9, v4, vcc
	v_mul_f64 v[10:11], v[10:11], s[14:15]
	v_and_or_b32 v4, v7, s16, v6
	v_cmp_ne_u32_e32 vcc, 0, v4
	v_lshrrev_b32_e32 v6, 8, v7
	v_and_or_b32 v10, v11, s16, v10
	v_bfe_u32 v12, v7, 20, 11
	v_cndmask_b32_e64 v4, 0, 1, vcc
	v_cmp_ne_u32_e32 vcc, 0, v10
	v_lshrrev_b32_e32 v13, 8, v11
	v_bfe_u32 v14, v11, 20, 11
	v_sub_u32_e32 v15, 0x3f1, v12
	v_cndmask_b32_e64 v10, 0, 1, vcc
	v_and_or_b32 v4, v6, s10, v4
	v_sub_u32_e32 v16, 0x3f1, v14
	v_med3_i32 v6, v15, 0, 13
	v_and_or_b32 v10, v13, s10, v10
	v_or_b32_e32 v15, 0x1000, v4
	v_add_u32_e32 v12, 0xfffffc10, v12
	v_med3_i32 v13, v16, 0, 13
	v_cmp_ne_u32_e32 vcc, 0, v4
	v_or_b32_e32 v17, 0x1000, v10
	v_lshrrev_b32_e32 v19, v6, v15
	v_add_u32_e32 v14, 0xfffffc10, v14
	v_lshl_or_b32 v16, v12, 12, v4
	v_cndmask_b32_e64 v4, 0, 1, vcc
	v_cmp_ne_u32_e32 vcc, 0, v10
	v_lshrrev_b32_e32 v20, v13, v17
	v_lshlrev_b32_e32 v6, v6, v19
	v_lshl_or_b32 v18, v14, 12, v10
	v_cndmask_b32_e64 v10, 0, 1, vcc
	v_lshlrev_b32_e32 v13, v13, v20
	v_cmp_ne_u32_e32 vcc, v6, v15
	v_cndmask_b32_e64 v6, 0, 1, vcc
	v_cmp_ne_u32_e32 vcc, v13, v17
	v_cndmask_b32_e64 v13, 0, 1, vcc
	v_or_b32_e32 v6, v19, v6
	v_cmp_gt_i32_e32 vcc, 1, v12
	v_cndmask_b32_e32 v6, v16, v6, vcc
	v_or_b32_e32 v13, v20, v13
	v_cmp_gt_i32_e32 vcc, 1, v14
	v_and_b32_e32 v15, 7, v6
	v_cndmask_b32_e32 v13, v18, v13, vcc
	v_cmp_lt_i32_e32 vcc, 5, v15
	v_cmp_eq_u32_e64 s[0:1], 3, v15
	v_lshrrev_b32_e32 v6, 2, v6
	v_and_b32_e32 v16, 7, v13
	s_or_b64 vcc, s[0:1], vcc
	v_cmp_lt_i32_e64 s[2:3], 5, v16
	v_cmp_eq_u32_e64 s[4:5], 3, v16
	v_addc_co_u32_e32 v6, vcc, 0, v6, vcc
	v_lshrrev_b32_e32 v13, 2, v13
	s_or_b64 vcc, s[4:5], s[2:3]
	v_addc_co_u32_e32 v13, vcc, 0, v13, vcc
	v_cmp_gt_i32_e32 vcc, 31, v12
	v_cndmask_b32_e32 v6, v0, v6, vcc
	v_cmp_gt_i32_e32 vcc, 31, v14
	v_lshl_or_b32 v4, v4, 9, v0
	v_cndmask_b32_e32 v13, v0, v13, vcc
	v_cmp_eq_u32_e32 vcc, s18, v12
	v_lshrrev_b32_e32 v7, 16, v7
	v_lshl_or_b32 v10, v10, 9, v0
	v_cndmask_b32_e32 v4, v6, v4, vcc
	v_cmp_eq_u32_e32 vcc, s18, v14
	v_lshrrev_b32_e32 v11, 16, v11
	v_cndmask_b32_e32 v6, v13, v10, vcc
	v_and_or_b32 v4, v7, s17, v4
	v_and_or_b32 v6, v11, s17, v6
	v_and_b32_e32 v4, 0xffff, v4
	v_lshl_or_b32 v4, v6, 16, v4
	global_store_dword v[8:9], v4, off
	global_load_dword v4, v36, s[6:7] offset:360
	v_lshrrev_b32_e32 v6, 16, v5
	v_mov_b32_e32 v10, s12
	v_add_co_u32_e32 v8, vcc, s11, v8
	v_addc_co_u32_e32 v9, vcc, v9, v10, vcc
	s_waitcnt vmcnt(0)
	v_mul_f16_sdwa v7, v6, v4 dst_sel:DWORD dst_unused:UNUSED_PAD src0_sel:DWORD src1_sel:WORD_1
	v_fma_f16 v7, v5, v4, v7
	v_mul_f16_sdwa v5, v5, v4 dst_sel:DWORD dst_unused:UNUSED_PAD src0_sel:DWORD src1_sel:WORD_1
	v_cvt_f32_f16_e32 v7, v7
	v_fma_f16 v4, v4, v6, -v5
	v_cvt_f32_f16_e32 v6, v4
	v_cvt_f64_f32_e32 v[4:5], v7
	v_cvt_f64_f32_e32 v[6:7], v6
	v_mul_f64 v[4:5], v[4:5], s[14:15]
	v_mul_f64 v[6:7], v[6:7], s[14:15]
	v_and_or_b32 v4, v5, s16, v4
	v_cmp_ne_u32_e32 vcc, 0, v4
	v_and_or_b32 v6, v7, s16, v6
	v_lshrrev_b32_e32 v10, 8, v5
	v_bfe_u32 v11, v5, 20, 11
	v_cndmask_b32_e64 v4, 0, 1, vcc
	v_cmp_ne_u32_e32 vcc, 0, v6
	v_lshrrev_b32_e32 v12, 8, v7
	v_bfe_u32 v13, v7, 20, 11
	v_sub_u32_e32 v14, 0x3f1, v11
	v_cndmask_b32_e64 v6, 0, 1, vcc
	v_and_or_b32 v4, v10, s10, v4
	v_sub_u32_e32 v15, 0x3f1, v13
	v_med3_i32 v10, v14, 0, 13
	v_and_or_b32 v6, v12, s10, v6
	v_or_b32_e32 v14, 0x1000, v4
	v_add_u32_e32 v11, 0xfffffc10, v11
	v_med3_i32 v12, v15, 0, 13
	v_cmp_ne_u32_e32 vcc, 0, v4
	v_or_b32_e32 v16, 0x1000, v6
	v_lshrrev_b32_e32 v18, v10, v14
	v_add_u32_e32 v13, 0xfffffc10, v13
	v_lshl_or_b32 v15, v11, 12, v4
	v_cndmask_b32_e64 v4, 0, 1, vcc
	v_cmp_ne_u32_e32 vcc, 0, v6
	v_lshrrev_b32_e32 v19, v12, v16
	v_lshlrev_b32_e32 v10, v10, v18
	v_lshl_or_b32 v17, v13, 12, v6
	v_cndmask_b32_e64 v6, 0, 1, vcc
	v_lshlrev_b32_e32 v12, v12, v19
	v_cmp_ne_u32_e32 vcc, v10, v14
	v_cndmask_b32_e64 v10, 0, 1, vcc
	v_cmp_ne_u32_e32 vcc, v12, v16
	v_cndmask_b32_e64 v12, 0, 1, vcc
	v_or_b32_e32 v10, v18, v10
	v_cmp_gt_i32_e32 vcc, 1, v11
	v_cndmask_b32_e32 v10, v15, v10, vcc
	v_or_b32_e32 v12, v19, v12
	v_cmp_gt_i32_e32 vcc, 1, v13
	v_and_b32_e32 v14, 7, v10
	v_cndmask_b32_e32 v12, v17, v12, vcc
	v_cmp_lt_i32_e32 vcc, 5, v14
	v_cmp_eq_u32_e64 s[0:1], 3, v14
	v_lshrrev_b32_e32 v10, 2, v10
	v_and_b32_e32 v15, 7, v12
	s_or_b64 vcc, s[0:1], vcc
	v_cmp_lt_i32_e64 s[2:3], 5, v15
	v_cmp_eq_u32_e64 s[4:5], 3, v15
	v_addc_co_u32_e32 v10, vcc, 0, v10, vcc
	v_lshrrev_b32_e32 v12, 2, v12
	s_or_b64 vcc, s[4:5], s[2:3]
	v_addc_co_u32_e32 v12, vcc, 0, v12, vcc
	v_cmp_gt_i32_e32 vcc, 31, v11
	v_cndmask_b32_e32 v10, v0, v10, vcc
	v_cmp_gt_i32_e32 vcc, 31, v13
	v_lshl_or_b32 v4, v4, 9, v0
	v_cndmask_b32_e32 v12, v0, v12, vcc
	v_cmp_eq_u32_e32 vcc, s18, v11
	v_lshrrev_b32_e32 v5, 16, v5
	v_lshl_or_b32 v6, v6, 9, v0
	v_cndmask_b32_e32 v4, v10, v4, vcc
	v_cmp_eq_u32_e32 vcc, s18, v13
	v_lshrrev_b32_e32 v7, 16, v7
	v_cndmask_b32_e32 v6, v12, v6, vcc
	v_and_or_b32 v4, v5, s17, v4
	v_and_or_b32 v5, v7, s17, v6
	v_and_b32_e32 v4, 0xffff, v4
	v_lshl_or_b32 v4, v5, 16, v4
	global_store_dword v[8:9], v4, off
	global_load_dword v6, v36, s[6:7] offset:420
	ds_read2_b32 v[4:5], v3 offset0:105 offset1:120
	v_add_co_u32_e32 v8, vcc, s11, v8
	s_waitcnt lgkmcnt(0)
	v_lshrrev_b32_e32 v7, 16, v4
	s_waitcnt vmcnt(0)
	v_mul_f16_sdwa v10, v7, v6 dst_sel:DWORD dst_unused:UNUSED_PAD src0_sel:DWORD src1_sel:WORD_1
	v_fma_f16 v10, v4, v6, v10
	v_mul_f16_sdwa v4, v4, v6 dst_sel:DWORD dst_unused:UNUSED_PAD src0_sel:DWORD src1_sel:WORD_1
	v_cvt_f32_f16_e32 v10, v10
	v_fma_f16 v4, v6, v7, -v4
	v_cvt_f32_f16_e32 v4, v4
	v_cvt_f64_f32_e32 v[6:7], v10
	v_cvt_f64_f32_e32 v[10:11], v4
	v_mov_b32_e32 v4, s12
	v_mul_f64 v[6:7], v[6:7], s[14:15]
	v_addc_co_u32_e32 v9, vcc, v9, v4, vcc
	v_mul_f64 v[10:11], v[10:11], s[14:15]
	v_and_or_b32 v4, v7, s16, v6
	v_cmp_ne_u32_e32 vcc, 0, v4
	v_lshrrev_b32_e32 v6, 8, v7
	v_and_or_b32 v10, v11, s16, v10
	v_bfe_u32 v12, v7, 20, 11
	v_cndmask_b32_e64 v4, 0, 1, vcc
	v_cmp_ne_u32_e32 vcc, 0, v10
	v_lshrrev_b32_e32 v13, 8, v11
	v_bfe_u32 v14, v11, 20, 11
	v_sub_u32_e32 v15, 0x3f1, v12
	v_cndmask_b32_e64 v10, 0, 1, vcc
	v_and_or_b32 v4, v6, s10, v4
	v_sub_u32_e32 v16, 0x3f1, v14
	v_med3_i32 v6, v15, 0, 13
	v_and_or_b32 v10, v13, s10, v10
	v_or_b32_e32 v15, 0x1000, v4
	v_add_u32_e32 v12, 0xfffffc10, v12
	v_med3_i32 v13, v16, 0, 13
	v_cmp_ne_u32_e32 vcc, 0, v4
	v_or_b32_e32 v17, 0x1000, v10
	v_lshrrev_b32_e32 v19, v6, v15
	v_add_u32_e32 v14, 0xfffffc10, v14
	v_lshl_or_b32 v16, v12, 12, v4
	v_cndmask_b32_e64 v4, 0, 1, vcc
	v_cmp_ne_u32_e32 vcc, 0, v10
	v_lshrrev_b32_e32 v20, v13, v17
	v_lshlrev_b32_e32 v6, v6, v19
	v_lshl_or_b32 v18, v14, 12, v10
	v_cndmask_b32_e64 v10, 0, 1, vcc
	v_lshlrev_b32_e32 v13, v13, v20
	v_cmp_ne_u32_e32 vcc, v6, v15
	v_cndmask_b32_e64 v6, 0, 1, vcc
	v_cmp_ne_u32_e32 vcc, v13, v17
	v_cndmask_b32_e64 v13, 0, 1, vcc
	v_or_b32_e32 v6, v19, v6
	v_cmp_gt_i32_e32 vcc, 1, v12
	v_cndmask_b32_e32 v6, v16, v6, vcc
	v_or_b32_e32 v13, v20, v13
	v_cmp_gt_i32_e32 vcc, 1, v14
	v_and_b32_e32 v15, 7, v6
	v_cndmask_b32_e32 v13, v18, v13, vcc
	v_cmp_lt_i32_e32 vcc, 5, v15
	v_cmp_eq_u32_e64 s[0:1], 3, v15
	v_lshrrev_b32_e32 v6, 2, v6
	v_and_b32_e32 v16, 7, v13
	s_or_b64 vcc, s[0:1], vcc
	v_cmp_lt_i32_e64 s[2:3], 5, v16
	v_cmp_eq_u32_e64 s[4:5], 3, v16
	v_addc_co_u32_e32 v6, vcc, 0, v6, vcc
	v_lshrrev_b32_e32 v13, 2, v13
	s_or_b64 vcc, s[4:5], s[2:3]
	v_addc_co_u32_e32 v13, vcc, 0, v13, vcc
	v_cmp_gt_i32_e32 vcc, 31, v12
	v_cndmask_b32_e32 v6, v0, v6, vcc
	v_cmp_gt_i32_e32 vcc, 31, v14
	v_lshl_or_b32 v4, v4, 9, v0
	v_cndmask_b32_e32 v13, v0, v13, vcc
	v_cmp_eq_u32_e32 vcc, s18, v12
	v_lshrrev_b32_e32 v7, 16, v7
	v_lshl_or_b32 v10, v10, 9, v0
	v_cndmask_b32_e32 v4, v6, v4, vcc
	v_cmp_eq_u32_e32 vcc, s18, v14
	v_lshrrev_b32_e32 v11, 16, v11
	v_cndmask_b32_e32 v6, v13, v10, vcc
	v_and_or_b32 v4, v7, s17, v4
	v_and_or_b32 v6, v11, s17, v6
	v_and_b32_e32 v4, 0xffff, v4
	v_lshl_or_b32 v4, v6, 16, v4
	global_store_dword v[8:9], v4, off
	global_load_dword v4, v36, s[6:7] offset:480
	v_lshrrev_b32_e32 v6, 16, v5
	v_mov_b32_e32 v10, s12
	v_add_co_u32_e32 v8, vcc, s11, v8
	v_addc_co_u32_e32 v9, vcc, v9, v10, vcc
	s_waitcnt vmcnt(0)
	v_mul_f16_sdwa v7, v6, v4 dst_sel:DWORD dst_unused:UNUSED_PAD src0_sel:DWORD src1_sel:WORD_1
	v_fma_f16 v7, v5, v4, v7
	v_mul_f16_sdwa v5, v5, v4 dst_sel:DWORD dst_unused:UNUSED_PAD src0_sel:DWORD src1_sel:WORD_1
	v_cvt_f32_f16_e32 v7, v7
	v_fma_f16 v4, v4, v6, -v5
	v_cvt_f32_f16_e32 v6, v4
	v_cvt_f64_f32_e32 v[4:5], v7
	v_cvt_f64_f32_e32 v[6:7], v6
	v_mul_f64 v[4:5], v[4:5], s[14:15]
	v_mul_f64 v[6:7], v[6:7], s[14:15]
	v_and_or_b32 v4, v5, s16, v4
	v_cmp_ne_u32_e32 vcc, 0, v4
	v_and_or_b32 v6, v7, s16, v6
	v_lshrrev_b32_e32 v10, 8, v5
	v_bfe_u32 v11, v5, 20, 11
	v_cndmask_b32_e64 v4, 0, 1, vcc
	v_cmp_ne_u32_e32 vcc, 0, v6
	v_lshrrev_b32_e32 v12, 8, v7
	v_bfe_u32 v13, v7, 20, 11
	v_sub_u32_e32 v14, 0x3f1, v11
	v_cndmask_b32_e64 v6, 0, 1, vcc
	v_and_or_b32 v4, v10, s10, v4
	v_sub_u32_e32 v15, 0x3f1, v13
	v_med3_i32 v10, v14, 0, 13
	v_and_or_b32 v6, v12, s10, v6
	v_or_b32_e32 v14, 0x1000, v4
	v_add_u32_e32 v11, 0xfffffc10, v11
	v_med3_i32 v12, v15, 0, 13
	v_cmp_ne_u32_e32 vcc, 0, v4
	v_or_b32_e32 v16, 0x1000, v6
	v_lshrrev_b32_e32 v18, v10, v14
	v_add_u32_e32 v13, 0xfffffc10, v13
	v_lshl_or_b32 v15, v11, 12, v4
	v_cndmask_b32_e64 v4, 0, 1, vcc
	v_cmp_ne_u32_e32 vcc, 0, v6
	v_lshrrev_b32_e32 v19, v12, v16
	v_lshlrev_b32_e32 v10, v10, v18
	v_lshl_or_b32 v17, v13, 12, v6
	v_cndmask_b32_e64 v6, 0, 1, vcc
	v_lshlrev_b32_e32 v12, v12, v19
	v_cmp_ne_u32_e32 vcc, v10, v14
	v_cndmask_b32_e64 v10, 0, 1, vcc
	v_cmp_ne_u32_e32 vcc, v12, v16
	v_cndmask_b32_e64 v12, 0, 1, vcc
	v_or_b32_e32 v10, v18, v10
	v_cmp_gt_i32_e32 vcc, 1, v11
	v_cndmask_b32_e32 v10, v15, v10, vcc
	v_or_b32_e32 v12, v19, v12
	v_cmp_gt_i32_e32 vcc, 1, v13
	v_and_b32_e32 v14, 7, v10
	v_cndmask_b32_e32 v12, v17, v12, vcc
	v_cmp_lt_i32_e32 vcc, 5, v14
	v_cmp_eq_u32_e64 s[0:1], 3, v14
	v_lshrrev_b32_e32 v10, 2, v10
	v_and_b32_e32 v15, 7, v12
	s_or_b64 vcc, s[0:1], vcc
	v_cmp_lt_i32_e64 s[2:3], 5, v15
	v_cmp_eq_u32_e64 s[4:5], 3, v15
	v_addc_co_u32_e32 v10, vcc, 0, v10, vcc
	v_lshrrev_b32_e32 v12, 2, v12
	s_or_b64 vcc, s[4:5], s[2:3]
	v_addc_co_u32_e32 v12, vcc, 0, v12, vcc
	v_cmp_gt_i32_e32 vcc, 31, v11
	v_cndmask_b32_e32 v10, v0, v10, vcc
	v_cmp_gt_i32_e32 vcc, 31, v13
	v_lshl_or_b32 v4, v4, 9, v0
	v_cndmask_b32_e32 v12, v0, v12, vcc
	v_cmp_eq_u32_e32 vcc, s18, v11
	v_lshrrev_b32_e32 v5, 16, v5
	v_lshl_or_b32 v6, v6, 9, v0
	v_cndmask_b32_e32 v4, v10, v4, vcc
	v_cmp_eq_u32_e32 vcc, s18, v13
	v_lshrrev_b32_e32 v7, 16, v7
	v_cndmask_b32_e32 v6, v12, v6, vcc
	v_and_or_b32 v4, v5, s17, v4
	v_and_or_b32 v5, v7, s17, v6
	v_and_b32_e32 v4, 0xffff, v4
	v_lshl_or_b32 v4, v5, 16, v4
	global_store_dword v[8:9], v4, off
	global_load_dword v6, v36, s[6:7] offset:540
	ds_read2_b32 v[4:5], v3 offset0:135 offset1:150
	v_add_co_u32_e32 v8, vcc, s11, v8
	s_waitcnt lgkmcnt(0)
	v_lshrrev_b32_e32 v7, 16, v4
	s_waitcnt vmcnt(0)
	v_mul_f16_sdwa v10, v7, v6 dst_sel:DWORD dst_unused:UNUSED_PAD src0_sel:DWORD src1_sel:WORD_1
	v_fma_f16 v10, v4, v6, v10
	v_mul_f16_sdwa v4, v4, v6 dst_sel:DWORD dst_unused:UNUSED_PAD src0_sel:DWORD src1_sel:WORD_1
	v_cvt_f32_f16_e32 v10, v10
	v_fma_f16 v4, v6, v7, -v4
	v_cvt_f32_f16_e32 v4, v4
	v_cvt_f64_f32_e32 v[6:7], v10
	v_cvt_f64_f32_e32 v[10:11], v4
	v_mov_b32_e32 v4, s12
	v_mul_f64 v[6:7], v[6:7], s[14:15]
	v_addc_co_u32_e32 v9, vcc, v9, v4, vcc
	v_mul_f64 v[10:11], v[10:11], s[14:15]
	v_and_or_b32 v4, v7, s16, v6
	v_cmp_ne_u32_e32 vcc, 0, v4
	v_lshrrev_b32_e32 v6, 8, v7
	v_and_or_b32 v10, v11, s16, v10
	v_bfe_u32 v12, v7, 20, 11
	v_cndmask_b32_e64 v4, 0, 1, vcc
	v_cmp_ne_u32_e32 vcc, 0, v10
	v_lshrrev_b32_e32 v13, 8, v11
	v_bfe_u32 v14, v11, 20, 11
	v_sub_u32_e32 v15, 0x3f1, v12
	v_cndmask_b32_e64 v10, 0, 1, vcc
	v_and_or_b32 v4, v6, s10, v4
	v_sub_u32_e32 v16, 0x3f1, v14
	v_med3_i32 v6, v15, 0, 13
	v_and_or_b32 v10, v13, s10, v10
	v_or_b32_e32 v15, 0x1000, v4
	v_add_u32_e32 v12, 0xfffffc10, v12
	v_med3_i32 v13, v16, 0, 13
	v_cmp_ne_u32_e32 vcc, 0, v4
	v_or_b32_e32 v17, 0x1000, v10
	v_lshrrev_b32_e32 v19, v6, v15
	v_add_u32_e32 v14, 0xfffffc10, v14
	v_lshl_or_b32 v16, v12, 12, v4
	v_cndmask_b32_e64 v4, 0, 1, vcc
	v_cmp_ne_u32_e32 vcc, 0, v10
	v_lshrrev_b32_e32 v20, v13, v17
	v_lshlrev_b32_e32 v6, v6, v19
	v_lshl_or_b32 v18, v14, 12, v10
	v_cndmask_b32_e64 v10, 0, 1, vcc
	v_lshlrev_b32_e32 v13, v13, v20
	v_cmp_ne_u32_e32 vcc, v6, v15
	v_cndmask_b32_e64 v6, 0, 1, vcc
	v_cmp_ne_u32_e32 vcc, v13, v17
	v_cndmask_b32_e64 v13, 0, 1, vcc
	v_or_b32_e32 v6, v19, v6
	v_cmp_gt_i32_e32 vcc, 1, v12
	v_cndmask_b32_e32 v6, v16, v6, vcc
	v_or_b32_e32 v13, v20, v13
	v_cmp_gt_i32_e32 vcc, 1, v14
	v_and_b32_e32 v15, 7, v6
	v_cndmask_b32_e32 v13, v18, v13, vcc
	v_cmp_lt_i32_e32 vcc, 5, v15
	v_cmp_eq_u32_e64 s[0:1], 3, v15
	v_lshrrev_b32_e32 v6, 2, v6
	v_and_b32_e32 v16, 7, v13
	s_or_b64 vcc, s[0:1], vcc
	v_cmp_lt_i32_e64 s[2:3], 5, v16
	v_cmp_eq_u32_e64 s[4:5], 3, v16
	v_addc_co_u32_e32 v6, vcc, 0, v6, vcc
	v_lshrrev_b32_e32 v13, 2, v13
	s_or_b64 vcc, s[4:5], s[2:3]
	v_addc_co_u32_e32 v13, vcc, 0, v13, vcc
	v_cmp_gt_i32_e32 vcc, 31, v12
	v_cndmask_b32_e32 v6, v0, v6, vcc
	v_cmp_gt_i32_e32 vcc, 31, v14
	v_lshl_or_b32 v4, v4, 9, v0
	v_cndmask_b32_e32 v13, v0, v13, vcc
	v_cmp_eq_u32_e32 vcc, s18, v12
	v_lshrrev_b32_e32 v7, 16, v7
	v_lshl_or_b32 v10, v10, 9, v0
	v_cndmask_b32_e32 v4, v6, v4, vcc
	v_cmp_eq_u32_e32 vcc, s18, v14
	v_lshrrev_b32_e32 v11, 16, v11
	v_cndmask_b32_e32 v6, v13, v10, vcc
	v_and_or_b32 v4, v7, s17, v4
	v_and_or_b32 v6, v11, s17, v6
	v_and_b32_e32 v4, 0xffff, v4
	v_lshl_or_b32 v4, v6, 16, v4
	global_store_dword v[8:9], v4, off
	global_load_dword v4, v36, s[6:7] offset:600
	v_lshrrev_b32_e32 v6, 16, v5
	v_mov_b32_e32 v10, s12
	v_add_co_u32_e32 v8, vcc, s11, v8
	v_addc_co_u32_e32 v9, vcc, v9, v10, vcc
	s_waitcnt vmcnt(0)
	v_mul_f16_sdwa v7, v6, v4 dst_sel:DWORD dst_unused:UNUSED_PAD src0_sel:DWORD src1_sel:WORD_1
	v_fma_f16 v7, v5, v4, v7
	v_mul_f16_sdwa v5, v5, v4 dst_sel:DWORD dst_unused:UNUSED_PAD src0_sel:DWORD src1_sel:WORD_1
	v_cvt_f32_f16_e32 v7, v7
	v_fma_f16 v4, v4, v6, -v5
	v_cvt_f32_f16_e32 v6, v4
	v_cvt_f64_f32_e32 v[4:5], v7
	v_cvt_f64_f32_e32 v[6:7], v6
	v_mul_f64 v[4:5], v[4:5], s[14:15]
	v_mul_f64 v[6:7], v[6:7], s[14:15]
	v_and_or_b32 v4, v5, s16, v4
	v_cmp_ne_u32_e32 vcc, 0, v4
	v_and_or_b32 v6, v7, s16, v6
	v_lshrrev_b32_e32 v10, 8, v5
	v_bfe_u32 v11, v5, 20, 11
	v_cndmask_b32_e64 v4, 0, 1, vcc
	v_cmp_ne_u32_e32 vcc, 0, v6
	v_lshrrev_b32_e32 v12, 8, v7
	v_bfe_u32 v13, v7, 20, 11
	v_sub_u32_e32 v14, 0x3f1, v11
	v_cndmask_b32_e64 v6, 0, 1, vcc
	v_and_or_b32 v4, v10, s10, v4
	v_sub_u32_e32 v15, 0x3f1, v13
	v_med3_i32 v10, v14, 0, 13
	v_and_or_b32 v6, v12, s10, v6
	v_or_b32_e32 v14, 0x1000, v4
	v_add_u32_e32 v11, 0xfffffc10, v11
	v_med3_i32 v12, v15, 0, 13
	v_cmp_ne_u32_e32 vcc, 0, v4
	v_or_b32_e32 v16, 0x1000, v6
	v_lshrrev_b32_e32 v18, v10, v14
	v_add_u32_e32 v13, 0xfffffc10, v13
	v_lshl_or_b32 v15, v11, 12, v4
	v_cndmask_b32_e64 v4, 0, 1, vcc
	v_cmp_ne_u32_e32 vcc, 0, v6
	v_lshrrev_b32_e32 v19, v12, v16
	v_lshlrev_b32_e32 v10, v10, v18
	v_lshl_or_b32 v17, v13, 12, v6
	v_cndmask_b32_e64 v6, 0, 1, vcc
	v_lshlrev_b32_e32 v12, v12, v19
	v_cmp_ne_u32_e32 vcc, v10, v14
	v_cndmask_b32_e64 v10, 0, 1, vcc
	v_cmp_ne_u32_e32 vcc, v12, v16
	v_cndmask_b32_e64 v12, 0, 1, vcc
	v_or_b32_e32 v10, v18, v10
	v_cmp_gt_i32_e32 vcc, 1, v11
	v_cndmask_b32_e32 v10, v15, v10, vcc
	v_or_b32_e32 v12, v19, v12
	v_cmp_gt_i32_e32 vcc, 1, v13
	v_and_b32_e32 v14, 7, v10
	v_cndmask_b32_e32 v12, v17, v12, vcc
	v_cmp_lt_i32_e32 vcc, 5, v14
	v_cmp_eq_u32_e64 s[0:1], 3, v14
	v_lshrrev_b32_e32 v10, 2, v10
	v_and_b32_e32 v15, 7, v12
	s_or_b64 vcc, s[0:1], vcc
	v_cmp_lt_i32_e64 s[2:3], 5, v15
	v_cmp_eq_u32_e64 s[4:5], 3, v15
	v_addc_co_u32_e32 v10, vcc, 0, v10, vcc
	v_lshrrev_b32_e32 v12, 2, v12
	s_or_b64 vcc, s[4:5], s[2:3]
	v_addc_co_u32_e32 v12, vcc, 0, v12, vcc
	v_cmp_gt_i32_e32 vcc, 31, v11
	v_cndmask_b32_e32 v10, v0, v10, vcc
	v_cmp_gt_i32_e32 vcc, 31, v13
	v_lshl_or_b32 v4, v4, 9, v0
	v_cndmask_b32_e32 v12, v0, v12, vcc
	v_cmp_eq_u32_e32 vcc, s18, v11
	v_lshrrev_b32_e32 v5, 16, v5
	v_lshl_or_b32 v6, v6, 9, v0
	v_cndmask_b32_e32 v4, v10, v4, vcc
	v_cmp_eq_u32_e32 vcc, s18, v13
	v_lshrrev_b32_e32 v7, 16, v7
	v_cndmask_b32_e32 v6, v12, v6, vcc
	v_and_or_b32 v4, v5, s17, v4
	v_and_or_b32 v5, v7, s17, v6
	v_and_b32_e32 v4, 0xffff, v4
	v_lshl_or_b32 v4, v5, 16, v4
	global_store_dword v[8:9], v4, off
	global_load_dword v6, v36, s[6:7] offset:660
	ds_read2_b32 v[4:5], v3 offset0:165 offset1:180
	v_add_co_u32_e32 v8, vcc, s11, v8
	s_waitcnt lgkmcnt(0)
	v_lshrrev_b32_e32 v7, 16, v4
	s_waitcnt vmcnt(0)
	v_mul_f16_sdwa v10, v7, v6 dst_sel:DWORD dst_unused:UNUSED_PAD src0_sel:DWORD src1_sel:WORD_1
	v_fma_f16 v10, v4, v6, v10
	v_mul_f16_sdwa v4, v4, v6 dst_sel:DWORD dst_unused:UNUSED_PAD src0_sel:DWORD src1_sel:WORD_1
	v_cvt_f32_f16_e32 v10, v10
	v_fma_f16 v4, v6, v7, -v4
	v_cvt_f32_f16_e32 v4, v4
	v_cvt_f64_f32_e32 v[6:7], v10
	v_cvt_f64_f32_e32 v[10:11], v4
	v_mov_b32_e32 v4, s12
	v_mul_f64 v[6:7], v[6:7], s[14:15]
	v_addc_co_u32_e32 v9, vcc, v9, v4, vcc
	v_mul_f64 v[10:11], v[10:11], s[14:15]
	v_and_or_b32 v4, v7, s16, v6
	v_cmp_ne_u32_e32 vcc, 0, v4
	v_lshrrev_b32_e32 v6, 8, v7
	v_and_or_b32 v10, v11, s16, v10
	v_bfe_u32 v12, v7, 20, 11
	v_cndmask_b32_e64 v4, 0, 1, vcc
	v_cmp_ne_u32_e32 vcc, 0, v10
	v_lshrrev_b32_e32 v13, 8, v11
	v_bfe_u32 v14, v11, 20, 11
	v_sub_u32_e32 v15, 0x3f1, v12
	v_cndmask_b32_e64 v10, 0, 1, vcc
	v_and_or_b32 v4, v6, s10, v4
	v_sub_u32_e32 v16, 0x3f1, v14
	v_med3_i32 v6, v15, 0, 13
	v_and_or_b32 v10, v13, s10, v10
	v_or_b32_e32 v15, 0x1000, v4
	v_add_u32_e32 v12, 0xfffffc10, v12
	v_med3_i32 v13, v16, 0, 13
	v_cmp_ne_u32_e32 vcc, 0, v4
	v_or_b32_e32 v17, 0x1000, v10
	v_lshrrev_b32_e32 v19, v6, v15
	v_add_u32_e32 v14, 0xfffffc10, v14
	v_lshl_or_b32 v16, v12, 12, v4
	v_cndmask_b32_e64 v4, 0, 1, vcc
	v_cmp_ne_u32_e32 vcc, 0, v10
	v_lshrrev_b32_e32 v20, v13, v17
	v_lshlrev_b32_e32 v6, v6, v19
	v_lshl_or_b32 v18, v14, 12, v10
	v_cndmask_b32_e64 v10, 0, 1, vcc
	v_lshlrev_b32_e32 v13, v13, v20
	v_cmp_ne_u32_e32 vcc, v6, v15
	v_cndmask_b32_e64 v6, 0, 1, vcc
	v_cmp_ne_u32_e32 vcc, v13, v17
	v_cndmask_b32_e64 v13, 0, 1, vcc
	v_or_b32_e32 v6, v19, v6
	v_cmp_gt_i32_e32 vcc, 1, v12
	v_cndmask_b32_e32 v6, v16, v6, vcc
	v_or_b32_e32 v13, v20, v13
	v_cmp_gt_i32_e32 vcc, 1, v14
	v_and_b32_e32 v15, 7, v6
	v_cndmask_b32_e32 v13, v18, v13, vcc
	v_cmp_lt_i32_e32 vcc, 5, v15
	v_cmp_eq_u32_e64 s[0:1], 3, v15
	v_lshrrev_b32_e32 v6, 2, v6
	v_and_b32_e32 v16, 7, v13
	s_or_b64 vcc, s[0:1], vcc
	v_cmp_lt_i32_e64 s[2:3], 5, v16
	v_cmp_eq_u32_e64 s[4:5], 3, v16
	v_addc_co_u32_e32 v6, vcc, 0, v6, vcc
	v_lshrrev_b32_e32 v13, 2, v13
	s_or_b64 vcc, s[4:5], s[2:3]
	v_addc_co_u32_e32 v13, vcc, 0, v13, vcc
	v_cmp_gt_i32_e32 vcc, 31, v12
	v_cndmask_b32_e32 v6, v0, v6, vcc
	v_cmp_gt_i32_e32 vcc, 31, v14
	v_lshl_or_b32 v4, v4, 9, v0
	v_cndmask_b32_e32 v13, v0, v13, vcc
	v_cmp_eq_u32_e32 vcc, s18, v12
	v_lshrrev_b32_e32 v7, 16, v7
	v_lshl_or_b32 v10, v10, 9, v0
	v_cndmask_b32_e32 v4, v6, v4, vcc
	v_cmp_eq_u32_e32 vcc, s18, v14
	v_lshrrev_b32_e32 v11, 16, v11
	v_cndmask_b32_e32 v6, v13, v10, vcc
	v_and_or_b32 v4, v7, s17, v4
	v_and_or_b32 v6, v11, s17, v6
	v_and_b32_e32 v4, 0xffff, v4
	v_lshl_or_b32 v4, v6, 16, v4
	global_store_dword v[8:9], v4, off
	global_load_dword v4, v36, s[6:7] offset:720
	v_lshrrev_b32_e32 v6, 16, v5
	v_mov_b32_e32 v10, s12
	v_add_co_u32_e32 v8, vcc, s11, v8
	v_addc_co_u32_e32 v9, vcc, v9, v10, vcc
	s_waitcnt vmcnt(0)
	v_mul_f16_sdwa v7, v6, v4 dst_sel:DWORD dst_unused:UNUSED_PAD src0_sel:DWORD src1_sel:WORD_1
	v_fma_f16 v7, v5, v4, v7
	v_mul_f16_sdwa v5, v5, v4 dst_sel:DWORD dst_unused:UNUSED_PAD src0_sel:DWORD src1_sel:WORD_1
	v_cvt_f32_f16_e32 v7, v7
	v_fma_f16 v4, v4, v6, -v5
	v_cvt_f32_f16_e32 v6, v4
	v_cvt_f64_f32_e32 v[4:5], v7
	v_cvt_f64_f32_e32 v[6:7], v6
	v_mul_f64 v[4:5], v[4:5], s[14:15]
	v_mul_f64 v[6:7], v[6:7], s[14:15]
	v_and_or_b32 v4, v5, s16, v4
	v_cmp_ne_u32_e32 vcc, 0, v4
	v_and_or_b32 v6, v7, s16, v6
	v_lshrrev_b32_e32 v10, 8, v5
	v_bfe_u32 v11, v5, 20, 11
	v_cndmask_b32_e64 v4, 0, 1, vcc
	v_cmp_ne_u32_e32 vcc, 0, v6
	v_lshrrev_b32_e32 v12, 8, v7
	v_bfe_u32 v13, v7, 20, 11
	v_sub_u32_e32 v14, 0x3f1, v11
	v_cndmask_b32_e64 v6, 0, 1, vcc
	v_and_or_b32 v4, v10, s10, v4
	v_sub_u32_e32 v15, 0x3f1, v13
	v_med3_i32 v10, v14, 0, 13
	v_and_or_b32 v6, v12, s10, v6
	v_or_b32_e32 v14, 0x1000, v4
	v_add_u32_e32 v11, 0xfffffc10, v11
	v_med3_i32 v12, v15, 0, 13
	v_cmp_ne_u32_e32 vcc, 0, v4
	v_or_b32_e32 v16, 0x1000, v6
	v_lshrrev_b32_e32 v18, v10, v14
	v_add_u32_e32 v13, 0xfffffc10, v13
	v_lshl_or_b32 v15, v11, 12, v4
	v_cndmask_b32_e64 v4, 0, 1, vcc
	v_cmp_ne_u32_e32 vcc, 0, v6
	v_lshrrev_b32_e32 v19, v12, v16
	v_lshlrev_b32_e32 v10, v10, v18
	v_lshl_or_b32 v17, v13, 12, v6
	v_cndmask_b32_e64 v6, 0, 1, vcc
	v_lshlrev_b32_e32 v12, v12, v19
	v_cmp_ne_u32_e32 vcc, v10, v14
	v_cndmask_b32_e64 v10, 0, 1, vcc
	v_cmp_ne_u32_e32 vcc, v12, v16
	v_cndmask_b32_e64 v12, 0, 1, vcc
	v_or_b32_e32 v10, v18, v10
	v_cmp_gt_i32_e32 vcc, 1, v11
	v_cndmask_b32_e32 v10, v15, v10, vcc
	v_or_b32_e32 v12, v19, v12
	v_cmp_gt_i32_e32 vcc, 1, v13
	v_and_b32_e32 v14, 7, v10
	v_cndmask_b32_e32 v12, v17, v12, vcc
	v_cmp_lt_i32_e32 vcc, 5, v14
	v_cmp_eq_u32_e64 s[0:1], 3, v14
	v_lshrrev_b32_e32 v10, 2, v10
	v_and_b32_e32 v15, 7, v12
	s_or_b64 vcc, s[0:1], vcc
	v_cmp_lt_i32_e64 s[2:3], 5, v15
	v_cmp_eq_u32_e64 s[4:5], 3, v15
	v_addc_co_u32_e32 v10, vcc, 0, v10, vcc
	v_lshrrev_b32_e32 v12, 2, v12
	s_or_b64 vcc, s[4:5], s[2:3]
	v_addc_co_u32_e32 v12, vcc, 0, v12, vcc
	v_cmp_gt_i32_e32 vcc, 31, v11
	v_cndmask_b32_e32 v10, v0, v10, vcc
	v_cmp_gt_i32_e32 vcc, 31, v13
	v_lshl_or_b32 v4, v4, 9, v0
	v_cndmask_b32_e32 v12, v0, v12, vcc
	v_cmp_eq_u32_e32 vcc, s18, v11
	v_lshrrev_b32_e32 v5, 16, v5
	v_lshl_or_b32 v6, v6, 9, v0
	v_cndmask_b32_e32 v4, v10, v4, vcc
	v_cmp_eq_u32_e32 vcc, s18, v13
	v_lshrrev_b32_e32 v7, 16, v7
	v_cndmask_b32_e32 v6, v12, v6, vcc
	v_and_or_b32 v4, v5, s17, v4
	v_and_or_b32 v5, v7, s17, v6
	v_and_b32_e32 v4, 0xffff, v4
	v_lshl_or_b32 v4, v5, 16, v4
	global_store_dword v[8:9], v4, off
	global_load_dword v6, v36, s[6:7] offset:780
	ds_read2_b32 v[4:5], v3 offset0:195 offset1:210
	v_add_co_u32_e32 v8, vcc, s11, v8
	s_waitcnt lgkmcnt(0)
	v_lshrrev_b32_e32 v7, 16, v4
	s_waitcnt vmcnt(0)
	v_mul_f16_sdwa v10, v7, v6 dst_sel:DWORD dst_unused:UNUSED_PAD src0_sel:DWORD src1_sel:WORD_1
	v_fma_f16 v10, v4, v6, v10
	v_mul_f16_sdwa v4, v4, v6 dst_sel:DWORD dst_unused:UNUSED_PAD src0_sel:DWORD src1_sel:WORD_1
	v_cvt_f32_f16_e32 v10, v10
	v_fma_f16 v4, v6, v7, -v4
	v_cvt_f32_f16_e32 v4, v4
	v_cvt_f64_f32_e32 v[6:7], v10
	v_cvt_f64_f32_e32 v[10:11], v4
	v_mov_b32_e32 v4, s12
	v_mul_f64 v[6:7], v[6:7], s[14:15]
	v_addc_co_u32_e32 v9, vcc, v9, v4, vcc
	v_mul_f64 v[10:11], v[10:11], s[14:15]
	v_and_or_b32 v4, v7, s16, v6
	v_cmp_ne_u32_e32 vcc, 0, v4
	v_lshrrev_b32_e32 v6, 8, v7
	v_and_or_b32 v10, v11, s16, v10
	v_bfe_u32 v12, v7, 20, 11
	v_cndmask_b32_e64 v4, 0, 1, vcc
	v_cmp_ne_u32_e32 vcc, 0, v10
	v_lshrrev_b32_e32 v13, 8, v11
	v_bfe_u32 v14, v11, 20, 11
	v_sub_u32_e32 v15, 0x3f1, v12
	v_cndmask_b32_e64 v10, 0, 1, vcc
	v_and_or_b32 v4, v6, s10, v4
	v_sub_u32_e32 v16, 0x3f1, v14
	v_med3_i32 v6, v15, 0, 13
	v_and_or_b32 v10, v13, s10, v10
	v_or_b32_e32 v15, 0x1000, v4
	v_add_u32_e32 v12, 0xfffffc10, v12
	v_med3_i32 v13, v16, 0, 13
	v_cmp_ne_u32_e32 vcc, 0, v4
	v_or_b32_e32 v17, 0x1000, v10
	v_lshrrev_b32_e32 v19, v6, v15
	v_add_u32_e32 v14, 0xfffffc10, v14
	v_lshl_or_b32 v16, v12, 12, v4
	v_cndmask_b32_e64 v4, 0, 1, vcc
	v_cmp_ne_u32_e32 vcc, 0, v10
	v_lshrrev_b32_e32 v20, v13, v17
	v_lshlrev_b32_e32 v6, v6, v19
	v_lshl_or_b32 v18, v14, 12, v10
	v_cndmask_b32_e64 v10, 0, 1, vcc
	v_lshlrev_b32_e32 v13, v13, v20
	v_cmp_ne_u32_e32 vcc, v6, v15
	v_cndmask_b32_e64 v6, 0, 1, vcc
	v_cmp_ne_u32_e32 vcc, v13, v17
	v_cndmask_b32_e64 v13, 0, 1, vcc
	v_or_b32_e32 v6, v19, v6
	v_cmp_gt_i32_e32 vcc, 1, v12
	v_cndmask_b32_e32 v6, v16, v6, vcc
	v_or_b32_e32 v13, v20, v13
	v_cmp_gt_i32_e32 vcc, 1, v14
	v_and_b32_e32 v15, 7, v6
	v_cndmask_b32_e32 v13, v18, v13, vcc
	v_cmp_lt_i32_e32 vcc, 5, v15
	v_cmp_eq_u32_e64 s[0:1], 3, v15
	v_lshrrev_b32_e32 v6, 2, v6
	v_and_b32_e32 v16, 7, v13
	s_or_b64 vcc, s[0:1], vcc
	v_cmp_lt_i32_e64 s[2:3], 5, v16
	v_cmp_eq_u32_e64 s[4:5], 3, v16
	v_addc_co_u32_e32 v6, vcc, 0, v6, vcc
	v_lshrrev_b32_e32 v13, 2, v13
	s_or_b64 vcc, s[4:5], s[2:3]
	v_addc_co_u32_e32 v13, vcc, 0, v13, vcc
	v_cmp_gt_i32_e32 vcc, 31, v12
	v_cndmask_b32_e32 v6, v0, v6, vcc
	v_cmp_gt_i32_e32 vcc, 31, v14
	v_lshl_or_b32 v4, v4, 9, v0
	v_cndmask_b32_e32 v13, v0, v13, vcc
	v_cmp_eq_u32_e32 vcc, s18, v12
	v_lshrrev_b32_e32 v7, 16, v7
	v_lshl_or_b32 v10, v10, 9, v0
	v_cndmask_b32_e32 v4, v6, v4, vcc
	v_cmp_eq_u32_e32 vcc, s18, v14
	v_lshrrev_b32_e32 v11, 16, v11
	v_cndmask_b32_e32 v6, v13, v10, vcc
	v_and_or_b32 v4, v7, s17, v4
	v_and_or_b32 v6, v11, s17, v6
	v_and_b32_e32 v4, 0xffff, v4
	v_lshl_or_b32 v4, v6, 16, v4
	global_store_dword v[8:9], v4, off
	global_load_dword v4, v36, s[6:7] offset:840
	v_lshrrev_b32_e32 v6, 16, v5
	v_mov_b32_e32 v10, s12
	v_add_co_u32_e32 v8, vcc, s11, v8
	v_addc_co_u32_e32 v9, vcc, v9, v10, vcc
	s_waitcnt vmcnt(0)
	v_mul_f16_sdwa v7, v6, v4 dst_sel:DWORD dst_unused:UNUSED_PAD src0_sel:DWORD src1_sel:WORD_1
	v_fma_f16 v7, v5, v4, v7
	v_mul_f16_sdwa v5, v5, v4 dst_sel:DWORD dst_unused:UNUSED_PAD src0_sel:DWORD src1_sel:WORD_1
	v_cvt_f32_f16_e32 v7, v7
	v_fma_f16 v4, v4, v6, -v5
	v_cvt_f32_f16_e32 v6, v4
	v_cvt_f64_f32_e32 v[4:5], v7
	v_cvt_f64_f32_e32 v[6:7], v6
	v_mul_f64 v[4:5], v[4:5], s[14:15]
	v_mul_f64 v[6:7], v[6:7], s[14:15]
	v_and_or_b32 v4, v5, s16, v4
	v_cmp_ne_u32_e32 vcc, 0, v4
	v_and_or_b32 v6, v7, s16, v6
	v_lshrrev_b32_e32 v10, 8, v5
	v_bfe_u32 v11, v5, 20, 11
	v_cndmask_b32_e64 v4, 0, 1, vcc
	v_cmp_ne_u32_e32 vcc, 0, v6
	v_lshrrev_b32_e32 v12, 8, v7
	v_bfe_u32 v13, v7, 20, 11
	v_sub_u32_e32 v14, 0x3f1, v11
	v_cndmask_b32_e64 v6, 0, 1, vcc
	v_and_or_b32 v4, v10, s10, v4
	v_sub_u32_e32 v15, 0x3f1, v13
	v_med3_i32 v10, v14, 0, 13
	v_and_or_b32 v6, v12, s10, v6
	v_or_b32_e32 v14, 0x1000, v4
	v_add_u32_e32 v11, 0xfffffc10, v11
	v_med3_i32 v12, v15, 0, 13
	v_cmp_ne_u32_e32 vcc, 0, v4
	v_or_b32_e32 v16, 0x1000, v6
	v_lshrrev_b32_e32 v18, v10, v14
	v_add_u32_e32 v13, 0xfffffc10, v13
	v_lshl_or_b32 v15, v11, 12, v4
	v_cndmask_b32_e64 v4, 0, 1, vcc
	v_cmp_ne_u32_e32 vcc, 0, v6
	v_lshrrev_b32_e32 v19, v12, v16
	v_lshlrev_b32_e32 v10, v10, v18
	v_lshl_or_b32 v17, v13, 12, v6
	v_cndmask_b32_e64 v6, 0, 1, vcc
	v_lshlrev_b32_e32 v12, v12, v19
	v_cmp_ne_u32_e32 vcc, v10, v14
	v_cndmask_b32_e64 v10, 0, 1, vcc
	v_cmp_ne_u32_e32 vcc, v12, v16
	v_cndmask_b32_e64 v12, 0, 1, vcc
	v_or_b32_e32 v10, v18, v10
	v_cmp_gt_i32_e32 vcc, 1, v11
	v_cndmask_b32_e32 v10, v15, v10, vcc
	v_or_b32_e32 v12, v19, v12
	v_cmp_gt_i32_e32 vcc, 1, v13
	v_and_b32_e32 v14, 7, v10
	v_cndmask_b32_e32 v12, v17, v12, vcc
	v_cmp_lt_i32_e32 vcc, 5, v14
	v_cmp_eq_u32_e64 s[0:1], 3, v14
	v_lshrrev_b32_e32 v10, 2, v10
	v_and_b32_e32 v15, 7, v12
	s_or_b64 vcc, s[0:1], vcc
	v_cmp_lt_i32_e64 s[2:3], 5, v15
	v_cmp_eq_u32_e64 s[4:5], 3, v15
	v_addc_co_u32_e32 v10, vcc, 0, v10, vcc
	v_lshrrev_b32_e32 v12, 2, v12
	s_or_b64 vcc, s[4:5], s[2:3]
	v_addc_co_u32_e32 v12, vcc, 0, v12, vcc
	v_cmp_gt_i32_e32 vcc, 31, v11
	v_cndmask_b32_e32 v10, v0, v10, vcc
	v_cmp_gt_i32_e32 vcc, 31, v13
	v_lshl_or_b32 v4, v4, 9, v0
	v_cndmask_b32_e32 v12, v0, v12, vcc
	v_cmp_eq_u32_e32 vcc, s18, v11
	v_lshrrev_b32_e32 v5, 16, v5
	v_lshl_or_b32 v6, v6, 9, v0
	v_cndmask_b32_e32 v4, v10, v4, vcc
	v_cmp_eq_u32_e32 vcc, s18, v13
	v_lshrrev_b32_e32 v7, 16, v7
	v_cndmask_b32_e32 v6, v12, v6, vcc
	v_and_or_b32 v4, v5, s17, v4
	v_and_or_b32 v5, v7, s17, v6
	v_and_b32_e32 v4, 0xffff, v4
	v_lshl_or_b32 v4, v5, 16, v4
	global_store_dword v[8:9], v4, off
	global_load_dword v5, v36, s[6:7] offset:900
	ds_read2_b32 v[3:4], v3 offset0:225 offset1:240
	s_waitcnt lgkmcnt(0)
	v_lshrrev_b32_e32 v6, 16, v3
	s_waitcnt vmcnt(0)
	v_mul_f16_sdwa v7, v6, v5 dst_sel:DWORD dst_unused:UNUSED_PAD src0_sel:DWORD src1_sel:WORD_1
	v_fma_f16 v7, v3, v5, v7
	v_mul_f16_sdwa v3, v3, v5 dst_sel:DWORD dst_unused:UNUSED_PAD src0_sel:DWORD src1_sel:WORD_1
	v_cvt_f32_f16_e32 v7, v7
	v_fma_f16 v3, v5, v6, -v3
	v_cvt_f32_f16_e32 v3, v3
	v_cvt_f64_f32_e32 v[5:6], v7
	v_add_co_u32_e32 v7, vcc, s11, v8
	v_cvt_f64_f32_e32 v[10:11], v3
	v_mul_f64 v[5:6], v[5:6], s[14:15]
	v_mov_b32_e32 v3, s12
	v_addc_co_u32_e32 v8, vcc, v9, v3, vcc
	v_mul_f64 v[10:11], v[10:11], s[14:15]
	v_and_or_b32 v3, v6, s16, v5
	v_cmp_ne_u32_e32 vcc, 0, v3
	v_lshrrev_b32_e32 v5, 8, v6
	v_bfe_u32 v9, v6, 20, 11
	v_and_or_b32 v10, v11, s16, v10
	v_cndmask_b32_e64 v3, 0, 1, vcc
	v_cmp_ne_u32_e32 vcc, 0, v10
	v_lshrrev_b32_e32 v12, 8, v11
	v_bfe_u32 v13, v11, 20, 11
	v_sub_u32_e32 v14, 0x3f1, v9
	v_cndmask_b32_e64 v10, 0, 1, vcc
	v_and_or_b32 v3, v5, s10, v3
	v_sub_u32_e32 v15, 0x3f1, v13
	v_med3_i32 v5, v14, 0, 13
	v_and_or_b32 v10, v12, s10, v10
	v_or_b32_e32 v14, 0x1000, v3
	v_add_u32_e32 v9, 0xfffffc10, v9
	v_med3_i32 v12, v15, 0, 13
	v_cmp_ne_u32_e32 vcc, 0, v3
	v_or_b32_e32 v16, 0x1000, v10
	v_lshrrev_b32_e32 v18, v5, v14
	v_add_u32_e32 v13, 0xfffffc10, v13
	v_lshl_or_b32 v15, v9, 12, v3
	v_cndmask_b32_e64 v3, 0, 1, vcc
	v_cmp_ne_u32_e32 vcc, 0, v10
	v_lshrrev_b32_e32 v19, v12, v16
	v_lshlrev_b32_e32 v5, v5, v18
	v_lshl_or_b32 v17, v13, 12, v10
	v_cndmask_b32_e64 v10, 0, 1, vcc
	v_lshlrev_b32_e32 v12, v12, v19
	v_cmp_ne_u32_e32 vcc, v5, v14
	v_cndmask_b32_e64 v5, 0, 1, vcc
	v_cmp_ne_u32_e32 vcc, v12, v16
	v_cndmask_b32_e64 v12, 0, 1, vcc
	v_or_b32_e32 v5, v18, v5
	v_cmp_gt_i32_e32 vcc, 1, v9
	v_cndmask_b32_e32 v5, v15, v5, vcc
	v_or_b32_e32 v12, v19, v12
	v_cmp_gt_i32_e32 vcc, 1, v13
	v_and_b32_e32 v14, 7, v5
	v_cndmask_b32_e32 v12, v17, v12, vcc
	v_cmp_lt_i32_e32 vcc, 5, v14
	v_cmp_eq_u32_e64 s[0:1], 3, v14
	v_lshrrev_b32_e32 v5, 2, v5
	v_and_b32_e32 v15, 7, v12
	s_or_b64 vcc, s[0:1], vcc
	v_cmp_lt_i32_e64 s[2:3], 5, v15
	v_cmp_eq_u32_e64 s[4:5], 3, v15
	v_addc_co_u32_e32 v5, vcc, 0, v5, vcc
	v_lshrrev_b32_e32 v12, 2, v12
	s_or_b64 vcc, s[4:5], s[2:3]
	v_addc_co_u32_e32 v12, vcc, 0, v12, vcc
	v_cmp_gt_i32_e32 vcc, 31, v9
	v_cndmask_b32_e32 v5, v0, v5, vcc
	v_cmp_gt_i32_e32 vcc, 31, v13
	v_lshl_or_b32 v3, v3, 9, v0
	v_cndmask_b32_e32 v12, v0, v12, vcc
	v_cmp_eq_u32_e32 vcc, s18, v9
	v_lshrrev_b32_e32 v6, 16, v6
	v_lshl_or_b32 v10, v10, 9, v0
	v_cndmask_b32_e32 v3, v5, v3, vcc
	v_cmp_eq_u32_e32 vcc, s18, v13
	v_lshrrev_b32_e32 v11, 16, v11
	v_cndmask_b32_e32 v5, v12, v10, vcc
	v_and_or_b32 v3, v6, s17, v3
	v_and_or_b32 v5, v11, s17, v5
	v_and_b32_e32 v3, 0xffff, v3
	v_lshl_or_b32 v3, v5, 16, v3
	global_store_dword v[7:8], v3, off
	global_load_dword v3, v36, s[6:7] offset:960
	v_lshrrev_b32_e32 v7, 16, v4
	v_or_b32_e32 v9, 0xf0, v35
	v_mad_u64_u32 v[5:6], s[0:1], s8, v9, 0
	s_waitcnt vmcnt(0)
	v_mul_f16_sdwa v8, v7, v3 dst_sel:DWORD dst_unused:UNUSED_PAD src0_sel:DWORD src1_sel:WORD_1
	v_fma_f16 v8, v4, v3, v8
	v_mul_f16_sdwa v4, v4, v3 dst_sel:DWORD dst_unused:UNUSED_PAD src0_sel:DWORD src1_sel:WORD_1
	v_cvt_f32_f16_e32 v8, v8
	v_fma_f16 v3, v3, v7, -v4
	v_cvt_f32_f16_e32 v7, v3
	v_cvt_f64_f32_e32 v[3:4], v8
	v_cvt_f64_f32_e32 v[7:8], v7
	v_mul_f64 v[3:4], v[3:4], s[14:15]
	v_mad_u64_u32 v[9:10], s[0:1], s9, v9, v[6:7]
	v_mul_f64 v[7:8], v[7:8], s[14:15]
	v_mov_b32_e32 v6, v9
	v_lshlrev_b64 v[5:6], 2, v[5:6]
	v_and_or_b32 v3, v4, s16, v3
	v_cmp_ne_u32_e32 vcc, 0, v3
	v_lshrrev_b32_e32 v9, 8, v4
	v_bfe_u32 v10, v4, 20, 11
	v_and_or_b32 v7, v8, s16, v7
	v_cndmask_b32_e64 v3, 0, 1, vcc
	v_cmp_ne_u32_e32 vcc, 0, v7
	v_lshrrev_b32_e32 v11, 8, v8
	v_bfe_u32 v12, v8, 20, 11
	v_sub_u32_e32 v13, 0x3f1, v10
	v_cndmask_b32_e64 v7, 0, 1, vcc
	v_and_or_b32 v3, v9, s10, v3
	v_sub_u32_e32 v14, 0x3f1, v12
	v_med3_i32 v9, v13, 0, 13
	v_and_or_b32 v7, v11, s10, v7
	v_or_b32_e32 v13, 0x1000, v3
	v_add_u32_e32 v10, 0xfffffc10, v10
	v_med3_i32 v11, v14, 0, 13
	v_cmp_ne_u32_e32 vcc, 0, v3
	v_or_b32_e32 v15, 0x1000, v7
	v_lshrrev_b32_e32 v17, v9, v13
	v_add_u32_e32 v12, 0xfffffc10, v12
	v_lshl_or_b32 v14, v10, 12, v3
	v_cndmask_b32_e64 v3, 0, 1, vcc
	v_cmp_ne_u32_e32 vcc, 0, v7
	v_lshrrev_b32_e32 v18, v11, v15
	v_lshlrev_b32_e32 v9, v9, v17
	v_lshl_or_b32 v16, v12, 12, v7
	v_cndmask_b32_e64 v7, 0, 1, vcc
	v_lshlrev_b32_e32 v11, v11, v18
	v_cmp_ne_u32_e32 vcc, v9, v13
	v_cndmask_b32_e64 v9, 0, 1, vcc
	v_cmp_ne_u32_e32 vcc, v11, v15
	v_cndmask_b32_e64 v11, 0, 1, vcc
	v_or_b32_e32 v9, v17, v9
	v_cmp_gt_i32_e32 vcc, 1, v10
	v_cndmask_b32_e32 v9, v14, v9, vcc
	v_or_b32_e32 v11, v18, v11
	v_cmp_gt_i32_e32 vcc, 1, v12
	v_and_b32_e32 v13, 7, v9
	v_cndmask_b32_e32 v11, v16, v11, vcc
	v_cmp_lt_i32_e32 vcc, 5, v13
	v_cmp_eq_u32_e64 s[0:1], 3, v13
	v_lshrrev_b32_e32 v9, 2, v9
	v_and_b32_e32 v14, 7, v11
	s_or_b64 vcc, s[0:1], vcc
	v_cmp_lt_i32_e64 s[2:3], 5, v14
	v_cmp_eq_u32_e64 s[4:5], 3, v14
	v_addc_co_u32_e32 v9, vcc, 0, v9, vcc
	v_lshrrev_b32_e32 v11, 2, v11
	s_or_b64 vcc, s[4:5], s[2:3]
	v_addc_co_u32_e32 v11, vcc, 0, v11, vcc
	v_cmp_gt_i32_e32 vcc, 31, v10
	v_cndmask_b32_e32 v9, v0, v9, vcc
	v_cmp_gt_i32_e32 vcc, 31, v12
	v_lshl_or_b32 v3, v3, 9, v0
	v_lshl_or_b32 v7, v7, 9, v0
	v_cndmask_b32_e32 v0, v0, v11, vcc
	v_cmp_eq_u32_e32 vcc, s18, v10
	v_lshrrev_b32_e32 v4, 16, v4
	v_cndmask_b32_e32 v3, v9, v3, vcc
	v_cmp_eq_u32_e32 vcc, s18, v12
	v_lshrrev_b32_e32 v8, 16, v8
	v_cndmask_b32_e32 v0, v0, v7, vcc
	v_and_or_b32 v3, v4, s17, v3
	v_and_or_b32 v0, v8, s17, v0
	v_and_b32_e32 v3, 0xffff, v3
	v_lshl_or_b32 v3, v0, 16, v3
	v_add_co_u32_e32 v0, vcc, v1, v5
	v_addc_co_u32_e32 v1, vcc, v2, v6, vcc
	global_store_dword v[0:1], v3, off
.LBB0_15:
	s_endpgm
	.section	.rodata,"a",@progbits
	.p2align	6, 0x0
	.amdhsa_kernel bluestein_single_back_len255_dim1_half_op_CI_CI
		.amdhsa_group_segment_fixed_size 3060
		.amdhsa_private_segment_fixed_size 0
		.amdhsa_kernarg_size 104
		.amdhsa_user_sgpr_count 6
		.amdhsa_user_sgpr_private_segment_buffer 1
		.amdhsa_user_sgpr_dispatch_ptr 0
		.amdhsa_user_sgpr_queue_ptr 0
		.amdhsa_user_sgpr_kernarg_segment_ptr 1
		.amdhsa_user_sgpr_dispatch_id 0
		.amdhsa_user_sgpr_flat_scratch_init 0
		.amdhsa_user_sgpr_private_segment_size 0
		.amdhsa_uses_dynamic_stack 0
		.amdhsa_system_sgpr_private_segment_wavefront_offset 0
		.amdhsa_system_sgpr_workgroup_id_x 1
		.amdhsa_system_sgpr_workgroup_id_y 0
		.amdhsa_system_sgpr_workgroup_id_z 0
		.amdhsa_system_sgpr_workgroup_info 0
		.amdhsa_system_vgpr_workitem_id 0
		.amdhsa_next_free_vgpr 225
		.amdhsa_next_free_sgpr 35
		.amdhsa_reserve_vcc 1
		.amdhsa_reserve_flat_scratch 0
		.amdhsa_float_round_mode_32 0
		.amdhsa_float_round_mode_16_64 0
		.amdhsa_float_denorm_mode_32 3
		.amdhsa_float_denorm_mode_16_64 3
		.amdhsa_dx10_clamp 1
		.amdhsa_ieee_mode 1
		.amdhsa_fp16_overflow 0
		.amdhsa_exception_fp_ieee_invalid_op 0
		.amdhsa_exception_fp_denorm_src 0
		.amdhsa_exception_fp_ieee_div_zero 0
		.amdhsa_exception_fp_ieee_overflow 0
		.amdhsa_exception_fp_ieee_underflow 0
		.amdhsa_exception_fp_ieee_inexact 0
		.amdhsa_exception_int_div_zero 0
	.end_amdhsa_kernel
	.text
.Lfunc_end0:
	.size	bluestein_single_back_len255_dim1_half_op_CI_CI, .Lfunc_end0-bluestein_single_back_len255_dim1_half_op_CI_CI
                                        ; -- End function
	.section	.AMDGPU.csdata,"",@progbits
; Kernel info:
; codeLenInByte = 27476
; NumSgprs: 39
; NumVgprs: 225
; ScratchSize: 0
; MemoryBound: 0
; FloatMode: 240
; IeeeMode: 1
; LDSByteSize: 3060 bytes/workgroup (compile time only)
; SGPRBlocks: 4
; VGPRBlocks: 56
; NumSGPRsForWavesPerEU: 39
; NumVGPRsForWavesPerEU: 225
; Occupancy: 1
; WaveLimiterHint : 1
; COMPUTE_PGM_RSRC2:SCRATCH_EN: 0
; COMPUTE_PGM_RSRC2:USER_SGPR: 6
; COMPUTE_PGM_RSRC2:TRAP_HANDLER: 0
; COMPUTE_PGM_RSRC2:TGID_X_EN: 1
; COMPUTE_PGM_RSRC2:TGID_Y_EN: 0
; COMPUTE_PGM_RSRC2:TGID_Z_EN: 0
; COMPUTE_PGM_RSRC2:TIDIG_COMP_CNT: 0
	.type	__hip_cuid_993aa63302d5f0c9,@object ; @__hip_cuid_993aa63302d5f0c9
	.section	.bss,"aw",@nobits
	.globl	__hip_cuid_993aa63302d5f0c9
__hip_cuid_993aa63302d5f0c9:
	.byte	0                               ; 0x0
	.size	__hip_cuid_993aa63302d5f0c9, 1

	.ident	"AMD clang version 19.0.0git (https://github.com/RadeonOpenCompute/llvm-project roc-6.4.0 25133 c7fe45cf4b819c5991fe208aaa96edf142730f1d)"
	.section	".note.GNU-stack","",@progbits
	.addrsig
	.addrsig_sym __hip_cuid_993aa63302d5f0c9
	.amdgpu_metadata
---
amdhsa.kernels:
  - .args:
      - .actual_access:  read_only
        .address_space:  global
        .offset:         0
        .size:           8
        .value_kind:     global_buffer
      - .actual_access:  read_only
        .address_space:  global
        .offset:         8
        .size:           8
        .value_kind:     global_buffer
      - .actual_access:  read_only
        .address_space:  global
        .offset:         16
        .size:           8
        .value_kind:     global_buffer
      - .actual_access:  read_only
        .address_space:  global
        .offset:         24
        .size:           8
        .value_kind:     global_buffer
      - .actual_access:  read_only
        .address_space:  global
        .offset:         32
        .size:           8
        .value_kind:     global_buffer
      - .offset:         40
        .size:           8
        .value_kind:     by_value
      - .address_space:  global
        .offset:         48
        .size:           8
        .value_kind:     global_buffer
      - .address_space:  global
        .offset:         56
        .size:           8
        .value_kind:     global_buffer
      - .address_space:  global
        .offset:         64
        .size:           8
        .value_kind:     global_buffer
      - .address_space:  global
        .offset:         72
        .size:           8
        .value_kind:     global_buffer
      - .offset:         80
        .size:           4
        .value_kind:     by_value
      - .address_space:  global
        .offset:         88
        .size:           8
        .value_kind:     global_buffer
      - .address_space:  global
        .offset:         96
        .size:           8
        .value_kind:     global_buffer
    .group_segment_fixed_size: 3060
    .kernarg_segment_align: 8
    .kernarg_segment_size: 104
    .language:       OpenCL C
    .language_version:
      - 2
      - 0
    .max_flat_workgroup_size: 51
    .name:           bluestein_single_back_len255_dim1_half_op_CI_CI
    .private_segment_fixed_size: 0
    .sgpr_count:     39
    .sgpr_spill_count: 0
    .symbol:         bluestein_single_back_len255_dim1_half_op_CI_CI.kd
    .uniform_work_group_size: 1
    .uses_dynamic_stack: false
    .vgpr_count:     225
    .vgpr_spill_count: 0
    .wavefront_size: 64
amdhsa.target:   amdgcn-amd-amdhsa--gfx906
amdhsa.version:
  - 1
  - 2
...

	.end_amdgpu_metadata
